;; amdgpu-corpus repo=ROCm/rocFFT kind=compiled arch=gfx1201 opt=O3
	.text
	.amdgcn_target "amdgcn-amd-amdhsa--gfx1201"
	.amdhsa_code_object_version 6
	.protected	fft_rtc_fwd_len2700_factors_3_10_10_3_3_wgs_90_tpt_90_halfLds_sp_ip_CI_sbrr_dirReg ; -- Begin function fft_rtc_fwd_len2700_factors_3_10_10_3_3_wgs_90_tpt_90_halfLds_sp_ip_CI_sbrr_dirReg
	.globl	fft_rtc_fwd_len2700_factors_3_10_10_3_3_wgs_90_tpt_90_halfLds_sp_ip_CI_sbrr_dirReg
	.p2align	8
	.type	fft_rtc_fwd_len2700_factors_3_10_10_3_3_wgs_90_tpt_90_halfLds_sp_ip_CI_sbrr_dirReg,@function
fft_rtc_fwd_len2700_factors_3_10_10_3_3_wgs_90_tpt_90_halfLds_sp_ip_CI_sbrr_dirReg: ; @fft_rtc_fwd_len2700_factors_3_10_10_3_3_wgs_90_tpt_90_halfLds_sp_ip_CI_sbrr_dirReg
; %bb.0:
	s_clause 0x2
	s_load_b64 s[12:13], s[0:1], 0x18
	s_load_b128 s[4:7], s[0:1], 0x0
	s_load_b64 s[10:11], s[0:1], 0x50
	v_mul_u32_u24_e32 v1, 0x2d9, v0
	v_mov_b32_e32 v3, 0
	s_delay_alu instid0(VALU_DEP_2) | instskip(NEXT) | instid1(VALU_DEP_1)
	v_lshrrev_b32_e32 v1, 16, v1
	v_add_nc_u32_e32 v5, ttmp9, v1
	v_mov_b32_e32 v1, 0
	v_mov_b32_e32 v2, 0
	;; [unrolled: 1-line block ×3, first 2 shown]
	s_wait_kmcnt 0x0
	s_load_b64 s[8:9], s[12:13], 0x0
	v_cmp_lt_u64_e64 s2, s[6:7], 2
	s_delay_alu instid0(VALU_DEP_1)
	s_and_b32 vcc_lo, exec_lo, s2
	s_cbranch_vccnz .LBB0_8
; %bb.1:
	s_load_b64 s[2:3], s[0:1], 0x10
	v_mov_b32_e32 v1, 0
	v_mov_b32_e32 v2, 0
	s_add_nc_u64 s[14:15], s[12:13], 8
	s_mov_b64 s[16:17], 1
	s_wait_kmcnt 0x0
	s_add_nc_u64 s[18:19], s[2:3], 8
	s_mov_b32 s3, 0
.LBB0_2:                                ; =>This Inner Loop Header: Depth=1
	s_load_b64 s[20:21], s[18:19], 0x0
                                        ; implicit-def: $vgpr7_vgpr8
	s_mov_b32 s2, exec_lo
	s_wait_kmcnt 0x0
	v_or_b32_e32 v4, s21, v6
	s_delay_alu instid0(VALU_DEP_1)
	v_cmpx_ne_u64_e32 0, v[3:4]
	s_wait_alu 0xfffe
	s_xor_b32 s22, exec_lo, s2
	s_cbranch_execz .LBB0_4
; %bb.3:                                ;   in Loop: Header=BB0_2 Depth=1
	s_cvt_f32_u32 s2, s20
	s_cvt_f32_u32 s23, s21
	s_sub_nc_u64 s[26:27], 0, s[20:21]
	s_wait_alu 0xfffe
	s_delay_alu instid0(SALU_CYCLE_1) | instskip(SKIP_1) | instid1(SALU_CYCLE_2)
	s_fmamk_f32 s2, s23, 0x4f800000, s2
	s_wait_alu 0xfffe
	v_s_rcp_f32 s2, s2
	s_delay_alu instid0(TRANS32_DEP_1) | instskip(SKIP_1) | instid1(SALU_CYCLE_2)
	s_mul_f32 s2, s2, 0x5f7ffffc
	s_wait_alu 0xfffe
	s_mul_f32 s23, s2, 0x2f800000
	s_wait_alu 0xfffe
	s_delay_alu instid0(SALU_CYCLE_2) | instskip(SKIP_1) | instid1(SALU_CYCLE_2)
	s_trunc_f32 s23, s23
	s_wait_alu 0xfffe
	s_fmamk_f32 s2, s23, 0xcf800000, s2
	s_cvt_u32_f32 s25, s23
	s_wait_alu 0xfffe
	s_delay_alu instid0(SALU_CYCLE_1) | instskip(SKIP_1) | instid1(SALU_CYCLE_2)
	s_cvt_u32_f32 s24, s2
	s_wait_alu 0xfffe
	s_mul_u64 s[28:29], s[26:27], s[24:25]
	s_wait_alu 0xfffe
	s_mul_hi_u32 s31, s24, s29
	s_mul_i32 s30, s24, s29
	s_mul_hi_u32 s2, s24, s28
	s_mul_i32 s33, s25, s28
	s_wait_alu 0xfffe
	s_add_nc_u64 s[30:31], s[2:3], s[30:31]
	s_mul_hi_u32 s23, s25, s28
	s_mul_hi_u32 s34, s25, s29
	s_add_co_u32 s2, s30, s33
	s_wait_alu 0xfffe
	s_add_co_ci_u32 s2, s31, s23
	s_mul_i32 s28, s25, s29
	s_add_co_ci_u32 s29, s34, 0
	s_wait_alu 0xfffe
	s_add_nc_u64 s[28:29], s[2:3], s[28:29]
	s_wait_alu 0xfffe
	v_add_co_u32 v4, s2, s24, s28
	s_delay_alu instid0(VALU_DEP_1) | instskip(SKIP_1) | instid1(VALU_DEP_1)
	s_cmp_lg_u32 s2, 0
	s_add_co_ci_u32 s25, s25, s29
	v_readfirstlane_b32 s24, v4
	s_wait_alu 0xfffe
	s_delay_alu instid0(VALU_DEP_1)
	s_mul_u64 s[26:27], s[26:27], s[24:25]
	s_wait_alu 0xfffe
	s_mul_hi_u32 s29, s24, s27
	s_mul_i32 s28, s24, s27
	s_mul_hi_u32 s2, s24, s26
	s_mul_i32 s30, s25, s26
	s_wait_alu 0xfffe
	s_add_nc_u64 s[28:29], s[2:3], s[28:29]
	s_mul_hi_u32 s23, s25, s26
	s_mul_hi_u32 s24, s25, s27
	s_wait_alu 0xfffe
	s_add_co_u32 s2, s28, s30
	s_add_co_ci_u32 s2, s29, s23
	s_mul_i32 s26, s25, s27
	s_add_co_ci_u32 s27, s24, 0
	s_wait_alu 0xfffe
	s_add_nc_u64 s[26:27], s[2:3], s[26:27]
	s_wait_alu 0xfffe
	v_add_co_u32 v4, s2, v4, s26
	s_delay_alu instid0(VALU_DEP_1) | instskip(SKIP_1) | instid1(VALU_DEP_1)
	s_cmp_lg_u32 s2, 0
	s_add_co_ci_u32 s2, s25, s27
	v_mul_hi_u32 v13, v5, v4
	s_wait_alu 0xfffe
	v_mad_co_u64_u32 v[7:8], null, v5, s2, 0
	v_mad_co_u64_u32 v[9:10], null, v6, v4, 0
	;; [unrolled: 1-line block ×3, first 2 shown]
	s_delay_alu instid0(VALU_DEP_3) | instskip(SKIP_1) | instid1(VALU_DEP_4)
	v_add_co_u32 v4, vcc_lo, v13, v7
	s_wait_alu 0xfffd
	v_add_co_ci_u32_e32 v7, vcc_lo, 0, v8, vcc_lo
	s_delay_alu instid0(VALU_DEP_2) | instskip(SKIP_1) | instid1(VALU_DEP_2)
	v_add_co_u32 v4, vcc_lo, v4, v9
	s_wait_alu 0xfffd
	v_add_co_ci_u32_e32 v4, vcc_lo, v7, v10, vcc_lo
	s_wait_alu 0xfffd
	v_add_co_ci_u32_e32 v7, vcc_lo, 0, v12, vcc_lo
	s_delay_alu instid0(VALU_DEP_2) | instskip(SKIP_1) | instid1(VALU_DEP_2)
	v_add_co_u32 v4, vcc_lo, v4, v11
	s_wait_alu 0xfffd
	v_add_co_ci_u32_e32 v9, vcc_lo, 0, v7, vcc_lo
	s_delay_alu instid0(VALU_DEP_2) | instskip(SKIP_1) | instid1(VALU_DEP_3)
	v_mul_lo_u32 v10, s21, v4
	v_mad_co_u64_u32 v[7:8], null, s20, v4, 0
	v_mul_lo_u32 v11, s20, v9
	s_delay_alu instid0(VALU_DEP_2) | instskip(NEXT) | instid1(VALU_DEP_2)
	v_sub_co_u32 v7, vcc_lo, v5, v7
	v_add3_u32 v8, v8, v11, v10
	s_delay_alu instid0(VALU_DEP_1) | instskip(SKIP_1) | instid1(VALU_DEP_1)
	v_sub_nc_u32_e32 v10, v6, v8
	s_wait_alu 0xfffd
	v_subrev_co_ci_u32_e64 v10, s2, s21, v10, vcc_lo
	v_add_co_u32 v11, s2, v4, 2
	s_wait_alu 0xf1ff
	v_add_co_ci_u32_e64 v12, s2, 0, v9, s2
	v_sub_co_u32 v13, s2, v7, s20
	v_sub_co_ci_u32_e32 v8, vcc_lo, v6, v8, vcc_lo
	s_wait_alu 0xf1ff
	v_subrev_co_ci_u32_e64 v10, s2, 0, v10, s2
	s_delay_alu instid0(VALU_DEP_3) | instskip(NEXT) | instid1(VALU_DEP_3)
	v_cmp_le_u32_e32 vcc_lo, s20, v13
	v_cmp_eq_u32_e64 s2, s21, v8
	s_wait_alu 0xfffd
	v_cndmask_b32_e64 v13, 0, -1, vcc_lo
	v_cmp_le_u32_e32 vcc_lo, s21, v10
	s_wait_alu 0xfffd
	v_cndmask_b32_e64 v14, 0, -1, vcc_lo
	v_cmp_le_u32_e32 vcc_lo, s20, v7
	;; [unrolled: 3-line block ×3, first 2 shown]
	s_wait_alu 0xfffd
	v_cndmask_b32_e64 v15, 0, -1, vcc_lo
	v_cmp_eq_u32_e32 vcc_lo, s21, v10
	s_wait_alu 0xf1ff
	s_delay_alu instid0(VALU_DEP_2)
	v_cndmask_b32_e64 v7, v15, v7, s2
	s_wait_alu 0xfffd
	v_cndmask_b32_e32 v10, v14, v13, vcc_lo
	v_add_co_u32 v13, vcc_lo, v4, 1
	s_wait_alu 0xfffd
	v_add_co_ci_u32_e32 v14, vcc_lo, 0, v9, vcc_lo
	s_delay_alu instid0(VALU_DEP_3) | instskip(SKIP_2) | instid1(VALU_DEP_3)
	v_cmp_ne_u32_e32 vcc_lo, 0, v10
	s_wait_alu 0xfffd
	v_cndmask_b32_e32 v10, v13, v11, vcc_lo
	v_cndmask_b32_e32 v8, v14, v12, vcc_lo
	v_cmp_ne_u32_e32 vcc_lo, 0, v7
	s_wait_alu 0xfffd
	s_delay_alu instid0(VALU_DEP_2)
	v_dual_cndmask_b32 v7, v4, v10 :: v_dual_cndmask_b32 v8, v9, v8
.LBB0_4:                                ;   in Loop: Header=BB0_2 Depth=1
	s_wait_alu 0xfffe
	s_and_not1_saveexec_b32 s2, s22
	s_cbranch_execz .LBB0_6
; %bb.5:                                ;   in Loop: Header=BB0_2 Depth=1
	v_cvt_f32_u32_e32 v4, s20
	s_sub_co_i32 s22, 0, s20
	s_delay_alu instid0(VALU_DEP_1) | instskip(NEXT) | instid1(TRANS32_DEP_1)
	v_rcp_iflag_f32_e32 v4, v4
	v_mul_f32_e32 v4, 0x4f7ffffe, v4
	s_delay_alu instid0(VALU_DEP_1) | instskip(SKIP_1) | instid1(VALU_DEP_1)
	v_cvt_u32_f32_e32 v4, v4
	s_wait_alu 0xfffe
	v_mul_lo_u32 v7, s22, v4
	s_delay_alu instid0(VALU_DEP_1) | instskip(NEXT) | instid1(VALU_DEP_1)
	v_mul_hi_u32 v7, v4, v7
	v_add_nc_u32_e32 v4, v4, v7
	s_delay_alu instid0(VALU_DEP_1) | instskip(NEXT) | instid1(VALU_DEP_1)
	v_mul_hi_u32 v4, v5, v4
	v_mul_lo_u32 v7, v4, s20
	v_add_nc_u32_e32 v8, 1, v4
	s_delay_alu instid0(VALU_DEP_2) | instskip(NEXT) | instid1(VALU_DEP_1)
	v_sub_nc_u32_e32 v7, v5, v7
	v_subrev_nc_u32_e32 v9, s20, v7
	v_cmp_le_u32_e32 vcc_lo, s20, v7
	s_wait_alu 0xfffd
	s_delay_alu instid0(VALU_DEP_2) | instskip(NEXT) | instid1(VALU_DEP_1)
	v_dual_cndmask_b32 v7, v7, v9 :: v_dual_cndmask_b32 v4, v4, v8
	v_cmp_le_u32_e32 vcc_lo, s20, v7
	s_delay_alu instid0(VALU_DEP_2) | instskip(SKIP_1) | instid1(VALU_DEP_1)
	v_add_nc_u32_e32 v8, 1, v4
	s_wait_alu 0xfffd
	v_dual_cndmask_b32 v7, v4, v8 :: v_dual_mov_b32 v8, v3
.LBB0_6:                                ;   in Loop: Header=BB0_2 Depth=1
	s_wait_alu 0xfffe
	s_or_b32 exec_lo, exec_lo, s2
	s_load_b64 s[22:23], s[14:15], 0x0
	s_delay_alu instid0(VALU_DEP_1)
	v_mul_lo_u32 v4, v8, s20
	v_mul_lo_u32 v11, v7, s21
	v_mad_co_u64_u32 v[9:10], null, v7, s20, 0
	s_add_nc_u64 s[16:17], s[16:17], 1
	s_add_nc_u64 s[14:15], s[14:15], 8
	s_wait_alu 0xfffe
	v_cmp_ge_u64_e64 s2, s[16:17], s[6:7]
	s_add_nc_u64 s[18:19], s[18:19], 8
	s_delay_alu instid0(VALU_DEP_2) | instskip(NEXT) | instid1(VALU_DEP_3)
	v_add3_u32 v4, v10, v11, v4
	v_sub_co_u32 v5, vcc_lo, v5, v9
	s_wait_alu 0xfffd
	s_delay_alu instid0(VALU_DEP_2) | instskip(SKIP_3) | instid1(VALU_DEP_2)
	v_sub_co_ci_u32_e32 v4, vcc_lo, v6, v4, vcc_lo
	s_and_b32 vcc_lo, exec_lo, s2
	s_wait_kmcnt 0x0
	v_mul_lo_u32 v6, s23, v5
	v_mul_lo_u32 v4, s22, v4
	v_mad_co_u64_u32 v[1:2], null, s22, v5, v[1:2]
	s_delay_alu instid0(VALU_DEP_1)
	v_add3_u32 v2, v6, v2, v4
	s_wait_alu 0xfffe
	s_cbranch_vccnz .LBB0_9
; %bb.7:                                ;   in Loop: Header=BB0_2 Depth=1
	v_dual_mov_b32 v5, v7 :: v_dual_mov_b32 v6, v8
	s_branch .LBB0_2
.LBB0_8:
	v_dual_mov_b32 v8, v6 :: v_dual_mov_b32 v7, v5
.LBB0_9:
	s_lshl_b64 s[2:3], s[6:7], 3
	v_mul_hi_u32 v3, 0x2d82d83, v0
	s_wait_alu 0xfffe
	s_add_nc_u64 s[2:3], s[12:13], s[2:3]
	s_load_b64 s[0:1], s[0:1], 0x20
	s_load_b64 s[2:3], s[2:3], 0x0
                                        ; implicit-def: $vgpr131
                                        ; implicit-def: $vgpr130
                                        ; implicit-def: $vgpr106
                                        ; implicit-def: $vgpr107
                                        ; implicit-def: $vgpr108
                                        ; implicit-def: $vgpr109
                                        ; implicit-def: $vgpr110
                                        ; implicit-def: $vgpr111
                                        ; implicit-def: $vgpr112
	s_delay_alu instid0(VALU_DEP_1) | instskip(NEXT) | instid1(VALU_DEP_1)
	v_mul_u32_u24_e32 v3, 0x5a, v3
	v_sub_nc_u32_e32 v101, v0, v3
	s_delay_alu instid0(VALU_DEP_1)
	v_add_nc_u32_e32 v100, 0x5a, v101
	v_add_nc_u32_e32 v99, 0xb4, v101
	;; [unrolled: 1-line block ×4, first 2 shown]
	s_wait_kmcnt 0x0
	v_cmp_gt_u64_e32 vcc_lo, s[0:1], v[7:8]
	v_mul_lo_u32 v3, s2, v8
	v_mul_lo_u32 v4, s3, v7
	v_mad_co_u64_u32 v[0:1], null, s2, v7, v[1:2]
	v_cmp_le_u64_e64 s0, s[0:1], v[7:8]
	v_add_nc_u32_e32 v90, 0x1c2, v101
	v_add_nc_u32_e32 v87, 0x21c, v101
	;; [unrolled: 1-line block ×5, first 2 shown]
	v_add3_u32 v1, v4, v1, v3
	s_and_saveexec_b32 s1, s0
	s_wait_alu 0xfffe
	s_xor_b32 s0, exec_lo, s1
; %bb.10:
	v_add_nc_u32_e32 v131, 0x5a, v101
	v_add_nc_u32_e32 v130, 0xb4, v101
	v_add_nc_u32_e32 v106, 0x10e, v101
	v_add_nc_u32_e32 v107, 0x168, v101
	v_add_nc_u32_e32 v108, 0x1c2, v101
	v_add_nc_u32_e32 v109, 0x21c, v101
	v_add_nc_u32_e32 v110, 0x276, v101
	v_add_nc_u32_e32 v111, 0x2d0, v101
	v_add_nc_u32_e32 v112, 0x32a, v101
; %bb.11:
	s_wait_alu 0xfffe
	s_or_saveexec_b32 s1, s0
	v_lshlrev_b64_e32 v[0:1], 3, v[0:1]
	v_add_nc_u32_e32 v104, 0x384, v101
	v_add_nc_u32_e32 v105, 0x708, v101
	;; [unrolled: 1-line block ×14, first 2 shown]
                                        ; implicit-def: $vgpr13
                                        ; implicit-def: $vgpr15
                                        ; implicit-def: $vgpr3
                                        ; implicit-def: $vgpr17
                                        ; implicit-def: $vgpr19
                                        ; implicit-def: $vgpr9
                                        ; implicit-def: $vgpr41
                                        ; implicit-def: $vgpr43
                                        ; implicit-def: $vgpr5
                                        ; implicit-def: $vgpr45
                                        ; implicit-def: $vgpr47
                                        ; implicit-def: $vgpr7
                                        ; implicit-def: $vgpr49
                                        ; implicit-def: $vgpr51
                                        ; implicit-def: $vgpr11
                                        ; implicit-def: $vgpr59
                                        ; implicit-def: $vgpr65
                                        ; implicit-def: $vgpr53
                                        ; implicit-def: $vgpr61
                                        ; implicit-def: $vgpr69
                                        ; implicit-def: $vgpr55
                                        ; implicit-def: $vgpr75
                                        ; implicit-def: $vgpr79
                                        ; implicit-def: $vgpr57
                                        ; implicit-def: $vgpr77
                                        ; implicit-def: $vgpr81
                                        ; implicit-def: $vgpr71
                                        ; implicit-def: $vgpr21
                                        ; implicit-def: $vgpr23
                                        ; implicit-def: $vgpr73
	s_wait_alu 0xfffe
	s_xor_b32 exec_lo, exec_lo, s1
	s_cbranch_execz .LBB0_13
; %bb.12:
	v_mad_co_u64_u32 v[4:5], null, s8, v101, 0
	v_mad_co_u64_u32 v[6:7], null, s8, v104, 0
	;; [unrolled: 1-line block ×4, first 2 shown]
	s_delay_alu instid0(VALU_DEP_4) | instskip(SKIP_4) | instid1(VALU_DEP_3)
	v_mov_b32_e32 v2, v5
	v_mad_co_u64_u32 v[114:115], null, s8, v82, 0
	v_mov_b32_e32 v3, v7
	v_mad_co_u64_u32 v[54:55], null, s8, v85, 0
	v_dual_mov_b32 v130, v99 :: v_dual_mov_b32 v131, v100
	v_mad_co_u64_u32 v[10:11], null, s9, v101, v[2:3]
	v_mad_co_u64_u32 v[11:12], null, s8, v100, 0
	;; [unrolled: 1-line block ×3, first 2 shown]
	s_delay_alu instid0(VALU_DEP_3) | instskip(NEXT) | instid1(VALU_DEP_3)
	v_dual_mov_b32 v2, v9 :: v_dual_mov_b32 v5, v10
	v_mov_b32_e32 v10, v12
	s_delay_alu instid0(VALU_DEP_2) | instskip(NEXT) | instid1(VALU_DEP_4)
	v_mad_co_u64_u32 v[14:15], null, s9, v105, v[2:3]
	v_mov_b32_e32 v7, v13
	v_mad_co_u64_u32 v[15:16], null, s8, v102, 0
	s_delay_alu instid0(VALU_DEP_4)
	v_mad_co_u64_u32 v[12:13], null, s9, v100, v[10:11]
	v_lshlrev_b64_e32 v[4:5], 3, v[4:5]
	v_mov_b32_e32 v9, v14
	v_mad_co_u64_u32 v[13:14], null, s8, v103, 0
	v_mov_b32_e32 v10, v16
	v_add_co_u32 v2, s0, s10, v0
	s_wait_alu 0xf1ff
	v_add_co_ci_u32_e64 v3, s0, s11, v1, s0
	s_delay_alu instid0(VALU_DEP_3)
	v_mad_co_u64_u32 v[16:17], null, s9, v102, v[10:11]
	v_lshlrev_b64_e32 v[10:11], 3, v[11:12]
	v_mov_b32_e32 v12, v14
	v_mad_co_u64_u32 v[17:18], null, s8, v99, 0
	v_lshlrev_b64_e32 v[6:7], 3, v[6:7]
	v_add_co_u32 v4, s0, v2, v4
	s_delay_alu instid0(VALU_DEP_4)
	v_mad_co_u64_u32 v[19:20], null, s9, v103, v[12:13]
	v_lshlrev_b64_e32 v[8:9], 3, v[8:9]
	v_mad_co_u64_u32 v[20:21], null, s8, v97, 0
	s_wait_alu 0xf1ff
	v_add_co_ci_u32_e64 v5, s0, v3, v5, s0
	v_add_co_u32 v6, s0, v2, v6
	v_mov_b32_e32 v12, v18
	v_mov_b32_e32 v14, v19
	s_wait_alu 0xf1ff
	v_add_co_ci_u32_e64 v7, s0, v3, v7, s0
	v_add_co_u32 v8, s0, v2, v8
	v_lshlrev_b64_e32 v[15:16], 3, v[15:16]
	s_wait_alu 0xf1ff
	v_add_co_ci_u32_e64 v9, s0, v3, v9, s0
	v_mad_co_u64_u32 v[18:19], null, s9, v99, v[12:13]
	v_lshlrev_b64_e32 v[13:14], 3, v[13:14]
	v_add_co_u32 v10, s0, v2, v10
	v_mov_b32_e32 v12, v21
	s_wait_alu 0xf1ff
	v_add_co_ci_u32_e64 v11, s0, v3, v11, s0
	v_add_co_u32 v15, s0, v2, v15
	s_wait_alu 0xf1ff
	v_add_co_ci_u32_e64 v16, s0, v3, v16, s0
	v_mad_co_u64_u32 v[24:25], null, s9, v97, v[12:13]
	v_add_co_u32 v12, s0, v2, v13
	s_wait_alu 0xf1ff
	v_add_co_ci_u32_e64 v13, s0, v3, v14, s0
	v_mov_b32_e32 v14, v23
	v_lshlrev_b64_e32 v[17:18], 3, v[17:18]
	v_mov_b32_e32 v21, v24
	v_mad_co_u64_u32 v[24:25], null, s8, v94, 0
	s_delay_alu instid0(VALU_DEP_4) | instskip(NEXT) | instid1(VALU_DEP_3)
	v_mad_co_u64_u32 v[26:27], null, s9, v98, v[14:15]
	v_lshlrev_b64_e32 v[19:20], 3, v[20:21]
	v_mad_co_u64_u32 v[27:28], null, s8, v95, 0
	v_add_co_u32 v17, s0, v2, v17
	s_delay_alu instid0(VALU_DEP_4) | instskip(SKIP_3) | instid1(VALU_DEP_3)
	v_dual_mov_b32 v14, v25 :: v_dual_mov_b32 v23, v26
	s_wait_alu 0xf1ff
	v_add_co_ci_u32_e64 v18, s0, v3, v18, s0
	v_add_co_u32 v29, s0, v2, v19
	v_mad_co_u64_u32 v[25:26], null, s9, v94, v[14:15]
	s_wait_alu 0xf1ff
	v_add_co_ci_u32_e64 v30, s0, v3, v20, s0
	v_mov_b32_e32 v14, v28
	v_lshlrev_b64_e32 v[19:20], 3, v[22:23]
	v_mad_co_u64_u32 v[21:22], null, s8, v96, 0
	s_delay_alu instid0(VALU_DEP_3) | instskip(NEXT) | instid1(VALU_DEP_3)
	v_mad_co_u64_u32 v[31:32], null, s9, v95, v[14:15]
	v_add_co_u32 v32, s0, v2, v19
	s_wait_alu 0xf1ff
	s_delay_alu instid0(VALU_DEP_4) | instskip(NEXT) | instid1(VALU_DEP_4)
	v_add_co_ci_u32_e64 v33, s0, v3, v20, s0
	v_mov_b32_e32 v14, v22
	v_lshlrev_b64_e32 v[19:20], 3, v[24:25]
	v_mov_b32_e32 v28, v31
	v_mad_co_u64_u32 v[23:24], null, s8, v91, 0
	s_delay_alu instid0(VALU_DEP_4) | instskip(NEXT) | instid1(VALU_DEP_4)
	v_mad_co_u64_u32 v[25:26], null, s9, v96, v[14:15]
	v_add_co_u32 v34, s0, v2, v19
	s_wait_alu 0xf1ff
	v_add_co_ci_u32_e64 v35, s0, v3, v20, s0
	v_lshlrev_b64_e32 v[19:20], 3, v[27:28]
	v_mov_b32_e32 v14, v24
	v_mad_co_u64_u32 v[26:27], null, s8, v93, 0
	v_dual_mov_b32 v22, v25 :: v_dual_add_nc_u32 v31, 0x546, v101
	s_delay_alu instid0(VALU_DEP_4) | instskip(NEXT) | instid1(VALU_DEP_4)
	v_add_co_u32 v36, s0, v2, v19
	v_mad_co_u64_u32 v[24:25], null, s9, v91, v[14:15]
	s_wait_alu 0xf1ff
	v_add_co_ci_u32_e64 v37, s0, v3, v20, s0
	v_lshlrev_b64_e32 v[19:20], 3, v[21:22]
	v_mad_co_u64_u32 v[21:22], null, s8, v92, 0
	v_mov_b32_e32 v14, v27
	s_delay_alu instid0(VALU_DEP_3) | instskip(NEXT) | instid1(VALU_DEP_2)
	v_add_co_u32 v38, s0, v2, v19
	v_mad_co_u64_u32 v[27:28], null, s9, v93, v[14:15]
	s_wait_alu 0xf1ff
	v_add_co_ci_u32_e64 v39, s0, v3, v20, s0
	v_lshlrev_b64_e32 v[19:20], 3, v[23:24]
	v_mov_b32_e32 v14, v22
	v_mad_co_u64_u32 v[23:24], null, s8, v90, 0
	s_delay_alu instid0(VALU_DEP_2) | instskip(NEXT) | instid1(VALU_DEP_4)
	v_mad_co_u64_u32 v[40:41], null, s9, v92, v[14:15]
	v_add_co_u32 v41, s0, v2, v19
	s_delay_alu instid0(VALU_DEP_3)
	v_mov_b32_e32 v14, v24
	s_wait_alu 0xf1ff
	v_add_co_ci_u32_e64 v42, s0, v3, v20, s0
	v_lshlrev_b64_e32 v[19:20], 3, v[26:27]
	v_mad_co_u64_u32 v[25:26], null, s8, v31, 0
	v_mov_b32_e32 v22, v40
	v_mad_co_u64_u32 v[27:28], null, s9, v90, v[14:15]
	v_add_nc_u32_e32 v40, 0x8ca, v101
	v_add_co_u32 v43, s0, v2, v19
	s_wait_alu 0xf1ff
	v_add_co_ci_u32_e64 v44, s0, v3, v20, s0
	v_mov_b32_e32 v14, v26
	v_lshlrev_b64_e32 v[19:20], 3, v[21:22]
	v_mad_co_u64_u32 v[21:22], null, s8, v40, 0
	v_mov_b32_e32 v24, v27
	s_delay_alu instid0(VALU_DEP_4) | instskip(NEXT) | instid1(VALU_DEP_4)
	v_mad_co_u64_u32 v[45:46], null, s9, v31, v[14:15]
	v_add_co_u32 v27, s0, v2, v19
	s_wait_alu 0xf1ff
	v_add_co_ci_u32_e64 v28, s0, v3, v20, s0
	v_lshlrev_b64_e32 v[19:20], 3, v[23:24]
	v_mov_b32_e32 v14, v22
	v_mad_co_u64_u32 v[23:24], null, s8, v87, 0
	v_dual_mov_b32 v26, v45 :: v_dual_add_nc_u32 v31, 0x654, v101
	s_delay_alu instid0(VALU_DEP_3) | instskip(SKIP_1) | instid1(VALU_DEP_4)
	v_mad_co_u64_u32 v[45:46], null, s9, v40, v[14:15]
	v_add_co_u32 v46, s0, v2, v19
	v_mov_b32_e32 v14, v24
	s_wait_alu 0xf1ff
	v_add_co_ci_u32_e64 v47, s0, v3, v20, s0
	v_lshlrev_b64_e32 v[19:20], 3, v[25:26]
	v_mad_co_u64_u32 v[25:26], null, s8, v89, 0
	v_mov_b32_e32 v22, v45
	v_mad_co_u64_u32 v[48:49], null, s9, v87, v[14:15]
	s_delay_alu instid0(VALU_DEP_4)
	v_add_co_u32 v49, s0, v2, v19
	s_wait_alu 0xf1ff
	v_add_co_ci_u32_e64 v50, s0, v3, v20, s0
	v_lshlrev_b64_e32 v[19:20], 3, v[21:22]
	v_mov_b32_e32 v14, v26
	v_mad_co_u64_u32 v[21:22], null, s8, v88, 0
	v_mov_b32_e32 v24, v48
	v_add_nc_u32_e32 v40, 0xa32, v101
	v_add_co_u32 v62, s0, v2, v19
	v_mad_co_u64_u32 v[51:52], null, s9, v89, v[14:15]
	s_wait_alu 0xf1ff
	v_add_co_ci_u32_e64 v63, s0, v3, v20, s0
	v_lshlrev_b64_e32 v[19:20], 3, v[23:24]
	v_mad_co_u64_u32 v[23:24], null, s8, v84, 0
	v_mov_b32_e32 v14, v22
	v_mov_b32_e32 v26, v51
	v_mad_co_u64_u32 v[122:123], null, s8, v40, 0
	v_add_co_u32 v66, s0, v2, v19
	s_delay_alu instid0(VALU_DEP_4)
	v_mad_co_u64_u32 v[51:52], null, s9, v88, v[14:15]
	v_mad_co_u64_u32 v[52:53], null, s8, v86, 0
	v_mov_b32_e32 v14, v24
	s_wait_alu 0xf1ff
	v_add_co_ci_u32_e64 v67, s0, v3, v20, s0
	v_lshlrev_b64_e32 v[19:20], 3, v[25:26]
	v_mov_b32_e32 v22, v51
	v_mad_co_u64_u32 v[25:26], null, s9, v84, v[14:15]
	v_mov_b32_e32 v24, v53
	v_mov_b32_e32 v14, v55
	v_add_co_u32 v106, s0, v2, v19
	s_wait_alu 0xf1ff
	v_add_co_ci_u32_e64 v107, s0, v3, v20, s0
	v_mad_co_u64_u32 v[56:57], null, s9, v86, v[24:25]
	v_mov_b32_e32 v24, v25
	v_mad_co_u64_u32 v[25:26], null, s8, v83, 0
	v_lshlrev_b64_e32 v[19:20], 3, v[21:22]
	v_mad_co_u64_u32 v[21:22], null, s9, v85, v[14:15]
	v_mov_b32_e32 v53, v56
	v_mad_co_u64_u32 v[56:57], null, s8, v31, 0
	v_mov_b32_e32 v14, v26
	v_add_co_u32 v108, s0, v2, v19
	s_wait_alu 0xf1ff
	v_add_co_ci_u32_e64 v109, s0, v3, v20, s0
	v_lshlrev_b64_e32 v[19:20], 3, v[23:24]
	v_lshlrev_b64_e32 v[22:23], 3, v[52:53]
	v_mad_co_u64_u32 v[51:52], null, s9, v83, v[14:15]
	v_dual_mov_b32 v24, v57 :: v_dual_mov_b32 v55, v21
	s_delay_alu instid0(VALU_DEP_4) | instskip(SKIP_2) | instid1(VALU_DEP_3)
	v_add_co_u32 v110, s0, v2, v19
	s_wait_alu 0xf1ff
	v_add_co_ci_u32_e64 v111, s0, v3, v20, s0
	v_mad_co_u64_u32 v[52:53], null, s9, v31, v[24:25]
	v_dual_mov_b32 v26, v51 :: v_dual_add_nc_u32 v31, 0x9d8, v101
	v_add_co_u32 v112, s0, v2, v22
	v_lshlrev_b64_e32 v[19:20], 3, v[54:55]
	s_delay_alu instid0(VALU_DEP_3) | instskip(NEXT) | instid1(VALU_DEP_4)
	v_lshlrev_b64_e32 v[21:22], 3, v[25:26]
	v_mad_co_u64_u32 v[24:25], null, s8, v31, 0
	v_add_nc_u32_e32 v26, 0x6ae, v101
	s_wait_alu 0xf1ff
	v_add_co_ci_u32_e64 v113, s0, v3, v23, s0
	v_add_co_u32 v116, s0, v2, v19
	s_wait_alu 0xf1ff
	v_add_co_ci_u32_e64 v117, s0, v3, v20, s0
	v_dual_mov_b32 v14, v25 :: v_dual_mov_b32 v57, v52
	v_add_co_u32 v118, s0, v2, v21
	v_mad_co_u64_u32 v[120:121], null, s8, v26, 0
	s_wait_alu 0xf1ff
	v_add_co_ci_u32_e64 v119, s0, v3, v22, s0
	v_mad_co_u64_u32 v[22:23], null, s9, v31, v[14:15]
	v_lshlrev_b64_e32 v[19:20], 3, v[56:57]
	s_delay_alu instid0(VALU_DEP_4) | instskip(NEXT) | instid1(VALU_DEP_1)
	v_dual_mov_b32 v21, v115 :: v_dual_mov_b32 v14, v121
	v_mad_co_u64_u32 v[51:52], null, s9, v82, v[21:22]
	s_delay_alu instid0(VALU_DEP_3)
	v_add_co_u32 v124, s0, v2, v19
	v_mov_b32_e32 v19, v123
	v_mov_b32_e32 v25, v22
	v_mad_co_u64_u32 v[126:127], null, s9, v26, v[14:15]
	s_wait_alu 0xf1ff
	v_add_co_ci_u32_e64 v125, s0, v3, v20, s0
	v_mad_co_u64_u32 v[19:20], null, s9, v40, v[19:20]
	v_mov_b32_e32 v115, v51
	s_clause 0x13
	global_load_b64 v[72:73], v[4:5], off
	global_load_b64 v[22:23], v[6:7], off
	;; [unrolled: 1-line block ×20, first 2 shown]
	v_lshlrev_b64_e32 v[8:9], 3, v[24:25]
	v_mov_b32_e32 v121, v126
	s_clause 0x3
	global_load_b64 v[44:45], v[108:109], off
	global_load_b64 v[4:5], v[110:111], off
	;; [unrolled: 1-line block ×4, first 2 shown]
	v_lshlrev_b64_e32 v[12:13], 3, v[114:115]
	v_dual_mov_b32 v123, v19 :: v_dual_mov_b32 v112, v82
	v_add_co_u32 v14, s0, v2, v8
	s_wait_alu 0xf1ff
	v_add_co_ci_u32_e64 v15, s0, v3, v9, s0
	v_lshlrev_b64_e32 v[8:9], 3, v[120:121]
	v_add_co_u32 v12, s0, v2, v12
	v_lshlrev_b64_e32 v[16:17], 3, v[122:123]
	s_wait_alu 0xf1ff
	v_add_co_ci_u32_e64 v13, s0, v3, v13, s0
	s_delay_alu instid0(VALU_DEP_4)
	v_add_co_u32 v24, s0, v2, v8
	s_wait_alu 0xf1ff
	v_add_co_ci_u32_e64 v25, s0, v3, v9, s0
	v_add_co_u32 v26, s0, v2, v16
	s_wait_alu 0xf1ff
	v_add_co_ci_u32_e64 v27, s0, v3, v17, s0
	s_clause 0x5
	global_load_b64 v[8:9], v[118:119], off
	global_load_b64 v[18:19], v[124:125], off
	;; [unrolled: 1-line block ×6, first 2 shown]
	v_dual_mov_b32 v111, v83 :: v_dual_mov_b32 v110, v84
	v_dual_mov_b32 v109, v87 :: v_dual_mov_b32 v108, v90
	;; [unrolled: 1-line block ×3, first 2 shown]
.LBB0_13:
	s_or_b32 exec_lo, exec_lo, s1
	s_wait_loadcnt 0x1b
	v_dual_add_f32 v24, v20, v22 :: v_dual_add_f32 v25, v22, v72
	v_dual_sub_f32 v26, v23, v21 :: v_dual_add_f32 v27, v21, v23
	s_wait_loadcnt 0x1
	s_delay_alu instid0(VALU_DEP_2) | instskip(SKIP_1) | instid1(VALU_DEP_3)
	v_dual_add_f32 v39, v14, v2 :: v_dual_fmac_f32 v72, -0.5, v24
	v_dual_add_f32 v23, v23, v73 :: v_dual_add_f32 v24, v76, v80
	v_fmac_f32_e32 v73, -0.5, v27
	v_add_f32_e32 v25, v20, v25
	s_delay_alu instid0(VALU_DEP_3) | instskip(SKIP_3) | instid1(VALU_DEP_3)
	v_dual_fmamk_f32 v27, v26, 0x3f5db3d7, v72 :: v_dual_add_f32 v136, v21, v23
	v_dual_sub_f32 v20, v22, v20 :: v_dual_add_f32 v21, v80, v70
	v_fmac_f32_e32 v70, -0.5, v24
	v_sub_f32_e32 v22, v81, v77
	v_dual_fmac_f32 v72, 0xbf5db3d7, v26 :: v_dual_fmamk_f32 v137, v20, 0xbf5db3d7, v73
	v_dual_fmac_f32 v73, 0x3f5db3d7, v20 :: v_dual_add_f32 v26, v68, v54
	s_delay_alu instid0(VALU_DEP_3) | instskip(SKIP_4) | instid1(VALU_DEP_3)
	v_fmamk_f32 v23, v22, 0x3f5db3d7, v70
	v_fmac_f32_e32 v70, 0xbf5db3d7, v22
	v_dual_add_f32 v22, v60, v68 :: v_dual_add_f32 v31, v50, v10
	v_dual_add_f32 v35, v42, v4 :: v_dual_add_f32 v20, v76, v21
	v_add_f32_e32 v21, v74, v78
	v_fmac_f32_e32 v54, -0.5, v22
	v_sub_f32_e32 v22, v69, v61
	v_dual_add_f32 v24, v78, v56 :: v_dual_lshlrev_b32 v113, 3, v109
	v_add_f32_e32 v34, v46, v6
	v_mad_u32_u24 v138, v101, 12, 0
	s_delay_alu instid0(VALU_DEP_4)
	v_fmamk_f32 v29, v22, 0x3f5db3d7, v54
	v_fmac_f32_e32 v54, 0xbf5db3d7, v22
	v_add_f32_e32 v22, v48, v50
	v_dual_fmac_f32 v56, -0.5, v21 :: v_dual_sub_f32 v21, v79, v75
	v_add_f32_e32 v24, v74, v24
	v_sub_f32_e32 v74, v78, v74
	s_delay_alu instid0(VALU_DEP_4) | instskip(SKIP_4) | instid1(VALU_DEP_4)
	v_fmac_f32_e32 v10, -0.5, v22
	v_sub_f32_e32 v22, v51, v49
	v_add_f32_e32 v30, v64, v52
	v_fmamk_f32 v28, v21, 0x3f5db3d7, v56
	v_dual_fmac_f32 v56, 0xbf5db3d7, v21 :: v_dual_add_f32 v21, v60, v26
	v_fmamk_f32 v33, v22, 0x3f5db3d7, v10
	v_fmac_f32_e32 v10, 0xbf5db3d7, v22
	v_add_f32_e32 v22, v40, v42
	v_add_f32_e32 v26, v58, v64
	v_sub_f32_e32 v42, v42, v40
	v_sub_f32_e32 v76, v80, v76
	v_mad_i32_i24 v139, v131, 12, 0
	v_fmac_f32_e32 v4, -0.5, v22
	v_sub_f32_e32 v22, v43, v41
	v_fmac_f32_e32 v52, -0.5, v26
	v_sub_f32_e32 v26, v65, v59
	v_mad_i32_i24 v140, v130, 12, 0
	v_add_f32_e32 v38, v18, v8
	v_fmamk_f32 v37, v22, 0x3f5db3d7, v4
	v_fmac_f32_e32 v4, 0xbf5db3d7, v22
	s_wait_loadcnt 0x0
	v_add_f32_e32 v22, v12, v14
	v_fmamk_f32 v32, v26, 0x3f5db3d7, v52
	v_dual_fmac_f32 v52, 0xbf5db3d7, v26 :: v_dual_add_f32 v145, v75, v79
	ds_store_2addr_b32 v138, v25, v27 offset1:1
	ds_store_b32 v138, v72 offset:8
	v_fmac_f32_e32 v2, -0.5, v22
	v_sub_f32_e32 v22, v15, v13
	v_add_f32_e32 v26, v48, v31
	v_add_f32_e32 v31, v44, v46
	v_sub_f32_e32 v60, v68, v60
	v_mad_i32_i24 v141, v107, 12, 0
	v_mad_i32_i24 v142, v108, 12, 0
	;; [unrolled: 1-line block ×3, first 2 shown]
	v_dual_fmac_f32 v6, -0.5, v31 :: v_dual_sub_f32 v31, v47, v45
	ds_store_2addr_b32 v139, v20, v23 offset1:1
	ds_store_b32 v139, v70 offset:8
	v_mad_i32_i24 v70, v106, 12, 0
	v_add_f32_e32 v38, v16, v38
	v_mad_i32_i24 v144, v111, 12, 0
	v_fmamk_f32 v36, v31, 0x3f5db3d7, v6
	v_fmac_f32_e32 v6, 0xbf5db3d7, v31
	v_add_f32_e32 v31, v40, v35
	v_add_f32_e32 v35, v16, v18
	ds_store_2addr_b32 v140, v24, v28 offset1:1
	ds_store_b32 v140, v56 offset:8
	v_lshl_add_u32 v56, v101, 2, 0
	v_and_b32_e32 v40, 0xff, v131
	v_add_f32_e32 v30, v58, v30
	v_dual_fmac_f32 v8, -0.5, v35 :: v_dual_sub_f32 v35, v19, v17
	s_delay_alu instid0(VALU_DEP_4) | instskip(SKIP_2) | instid1(VALU_DEP_4)
	v_dual_add_f32 v34, v44, v34 :: v_dual_add_nc_u32 v133, 0x400, v56
	v_sub_f32_e32 v44, v46, v44
	v_add_nc_u32_e32 v117, 0x1200, v56
	v_fmamk_f32 v62, v35, 0x3f5db3d7, v8
	v_fmac_f32_e32 v8, 0xbf5db3d7, v35
	v_dual_add_f32 v35, v12, v39 :: v_dual_sub_f32 v12, v14, v12
	v_add_f32_e32 v46, v43, v5
	ds_store_2addr_b32 v70, v21, v29 offset1:1
	ds_store_b32 v70, v54 offset:8
	ds_store_2addr_b32 v141, v30, v32 offset1:1
	ds_store_b32 v141, v52 offset:8
	v_mad_i32_i24 v52, v109, 12, 0
	v_dual_add_f32 v43, v41, v43 :: v_dual_add_nc_u32 v120, 0x2000, v56
	v_add_f32_e32 v46, v41, v46
	v_mul_lo_u16 v41, 0xab, v40
	v_fmamk_f32 v39, v22, 0x3f5db3d7, v2
	v_fmac_f32_e32 v2, 0xbf5db3d7, v22
	v_mad_i32_i24 v54, v112, 12, 0
	ds_store_2addr_b32 v142, v26, v33 offset1:1
	ds_store_b32 v142, v10 offset:8
	ds_store_2addr_b32 v52, v34, v36 offset1:1
	ds_store_b32 v52, v6 offset:8
	;; [unrolled: 2-line block ×5, first 2 shown]
	v_lshlrev_b32_e32 v114, 3, v106
	v_sub_f32_e32 v48, v50, v48
	v_sub_f32_e32 v18, v18, v16
	v_add_f32_e32 v50, v47, v7
	v_add_f32_e32 v47, v45, v47
	v_lshrrev_b16 v16, 9, v41
	v_dual_add_f32 v2, v77, v81 :: v_dual_and_b32 v41, 0xffff, v130
	s_delay_alu instid0(VALU_DEP_3) | instskip(SKIP_2) | instid1(VALU_DEP_4)
	v_dual_fmac_f32 v7, -0.5, v47 :: v_dual_add_nc_u32 v122, 0xc00, v56
	v_dual_fmac_f32 v5, -0.5, v43 :: v_dual_add_nc_u32 v124, 0x1e00, v56
	v_add_f32_e32 v81, v81, v71
	v_dual_fmac_f32 v71, -0.5, v2 :: v_dual_add_f32 v2, v79, v57
	v_dual_fmac_f32 v57, -0.5, v145 :: v_dual_add_nc_u32 v126, 0x2600, v56
	v_sub_f32_e32 v58, v64, v58
	v_lshlrev_b32_e32 v72, 3, v112
	s_delay_alu instid0(VALU_DEP_4)
	v_dual_add_f32 v2, v75, v2 :: v_dual_fmamk_f32 v47, v44, 0xbf5db3d7, v7
	v_fmac_f32_e32 v7, 0x3f5db3d7, v44
	v_fmamk_f32 v44, v42, 0xbf5db3d7, v5
	v_dual_fmac_f32 v5, 0x3f5db3d7, v42 :: v_dual_add_f32 v42, v19, v9
	v_add_f32_e32 v19, v17, v19
	v_sub_nc_u32_e32 v128, v54, v72
	v_sub_nc_u32_e32 v129, v52, v113
	v_fmamk_f32 v75, v74, 0xbf5db3d7, v57
	v_sub_nc_u32_e32 v127, v70, v114
	v_fmac_f32_e32 v9, -0.5, v19
	v_lshl_add_u32 v116, v131, 2, 0
	v_fmac_f32_e32 v57, 0x3f5db3d7, v74
	v_lshl_add_u32 v123, v130, 2, 0
	v_dual_add_f32 v77, v77, v81 :: v_dual_fmamk_f32 v78, v76, 0xbf5db3d7, v71
	v_add_f32_e32 v17, v17, v42
	v_add_nc_u32_e32 v115, 0x1000, v56
	v_fmac_f32_e32 v71, 0x3f5db3d7, v76
	global_wb scope:SCOPE_SE
	s_wait_dscnt 0x0
	s_barrier_signal -1
	s_barrier_wait -1
	global_inv scope:SCOPE_SE
	ds_load_b32 v4, v128
	v_add_nc_u32_e32 v119, 0x1c00, v56
	v_add_nc_u32_e32 v121, 0x2400, v56
	ds_load_b32 v10, v56
	ds_load_b32 v8, v116
	v_add_nc_u32_e32 v132, 0x800, v56
	v_add_nc_u32_e32 v125, 0x1400, v56
	v_fmamk_f32 v14, v18, 0xbf5db3d7, v9
	v_fmac_f32_e32 v9, 0x3f5db3d7, v18
	v_dual_add_f32 v45, v45, v50 :: v_dual_add_nc_u32 v118, 0x1800, v56
	ds_load_b32 v134, v129
	ds_load_b32 v135, v127
	ds_load_b32 v6, v123
	ds_load_2addr_b32 v[36:37], v115 offset0:56 offset1:146
	ds_load_2addr_b32 v[32:33], v117 offset0:108 offset1:198
	;; [unrolled: 1-line block ×12, first 2 shown]
	global_wb scope:SCOPE_SE
	s_wait_dscnt 0x0
	s_barrier_signal -1
	s_barrier_wait -1
	global_inv scope:SCOPE_SE
	ds_store_2addr_b32 v138, v136, v137 offset1:1
	ds_store_b32 v138, v73 offset:8
	ds_store_2addr_b32 v139, v77, v78 offset1:1
	ds_store_b32 v139, v71 offset:8
	;; [unrolled: 2-line block ×3, first 2 shown]
	v_add_f32_e32 v2, v51, v11
	v_add_f32_e32 v51, v49, v51
	;; [unrolled: 1-line block ×6, first 2 shown]
	v_fmac_f32_e32 v11, -0.5, v51
	v_fmac_f32_e32 v55, -0.5, v71
	v_mul_lo_u16 v19, v16, 3
	v_fmac_f32_e32 v53, -0.5, v73
	v_add_f32_e32 v61, v61, v69
	v_fmamk_f32 v43, v48, 0xbf5db3d7, v11
	v_dual_fmac_f32 v11, 0x3f5db3d7, v48 :: v_dual_add_f32 v48, v13, v15
	v_dual_add_f32 v15, v15, v3 :: v_dual_fmamk_f32 v64, v60, 0xbf5db3d7, v55
	v_add_f32_e32 v59, v59, v65
	v_fmac_f32_e32 v55, 0x3f5db3d7, v60
	s_delay_alu instid0(VALU_DEP_4) | instskip(NEXT) | instid1(VALU_DEP_4)
	v_fmac_f32_e32 v3, -0.5, v48
	v_add_f32_e32 v13, v13, v15
	v_mul_u32_u24_e32 v15, 0xaaab, v41
	v_fmamk_f32 v60, v58, 0xbf5db3d7, v53
	v_add_f32_e32 v2, v49, v2
	v_and_b32_e32 v42, 0xff, v101
	v_sub_nc_u16 v18, v131, v19
	v_fmamk_f32 v19, v12, 0xbf5db3d7, v3
	v_fmac_f32_e32 v3, 0x3f5db3d7, v12
	v_lshrrev_b32_e32 v12, 17, v15
	v_fmac_f32_e32 v53, 0x3f5db3d7, v58
	ds_store_2addr_b32 v70, v61, v64 offset1:1
	ds_store_b32 v70, v55 offset:8
	ds_store_2addr_b32 v141, v59, v60 offset1:1
	ds_store_b32 v141, v53 offset:8
	v_mul_lo_u16 v15, 0xab, v42
	ds_store_2addr_b32 v142, v2, v43 offset1:1
	ds_store_b32 v142, v11 offset:8
	v_mul_lo_u16 v2, v12, 3
	v_and_b32_e32 v69, 0xff, v18
	ds_store_2addr_b32 v52, v45, v47 offset1:1
	ds_store_b32 v52, v7 offset:8
	ds_store_2addr_b32 v143, v46, v44 offset1:1
	ds_store_b32 v143, v5 offset:8
	v_lshrrev_b16 v74, 9, v15
	ds_store_2addr_b32 v144, v17, v14 offset1:1
	ds_store_b32 v144, v9 offset:8
	v_sub_nc_u16 v2, v130, v2
	v_mul_u32_u24_e32 v11, 9, v69
	ds_store_2addr_b32 v54, v13, v19 offset1:1
	ds_store_b32 v54, v3 offset:8
	v_mul_lo_u16 v5, v74, 3
	global_wb scope:SCOPE_SE
	s_wait_dscnt 0x0
	v_and_b32_e32 v7, 0xffff, v2
	v_lshlrev_b32_e32 v3, 3, v11
	s_barrier_signal -1
	v_sub_nc_u16 v2, v101, v5
	s_barrier_wait -1
	v_mul_u32_u24_e32 v5, 9, v7
	global_inv scope:SCOPE_SE
	v_mul_u32_u24_e32 v12, 0x78, v12
	v_and_b32_e32 v75, 0xff, v2
	v_and_b32_e32 v74, 0xffff, v74
	v_lshlrev_b32_e32 v2, 3, v5
	s_clause 0x1
	global_load_b128 v[48:51], v3, s[4:5]
	global_load_b128 v[57:60], v2, s[4:5]
	v_mul_u32_u24_e32 v5, 9, v75
	v_and_b32_e32 v16, 0xffff, v16
	s_delay_alu instid0(VALU_DEP_2)
	v_lshlrev_b32_e32 v5, 3, v5
	s_clause 0xc
	global_load_b128 v[77:80], v5, s[4:5]
	global_load_b128 v[136:139], v5, s[4:5] offset:16
	global_load_b128 v[140:143], v3, s[4:5] offset:16
	;; [unrolled: 1-line block ×9, first 2 shown]
	global_load_b64 v[172:173], v5, s[4:5] offset:64
	global_load_b64 v[174:175], v3, s[4:5] offset:64
	;; [unrolled: 1-line block ×3, first 2 shown]
	ds_load_2addr_b32 v[13:14], v133 offset0:104 offset1:194
	ds_load_2addr_b32 v[17:18], v132 offset0:118 offset1:208
	ds_load_b32 v5, v127
	ds_load_b32 v15, v129
	;; [unrolled: 1-line block ×3, first 2 shown]
	ds_load_2addr_b32 v[176:177], v115 offset0:56 offset1:146
	ds_load_2addr_b32 v[178:179], v122 offset0:132 offset1:222
	;; [unrolled: 1-line block ×9, first 2 shown]
	ds_load_b32 v43, v123
	s_wait_loadcnt_dscnt 0xe0e
	v_mul_f32_e32 v9, v13, v49
	s_wait_loadcnt 0xd
	v_mul_f32_e32 v19, v14, v58
	v_mul_f32_e32 v49, v66, v49
	v_dual_mul_f32 v55, v62, v51 :: v_dual_mul_f32 v46, v63, v60
	s_wait_dscnt 0xd
	v_mul_f32_e32 v11, v17, v51
	v_mul_f32_e32 v47, v18, v60
	s_wait_loadcnt_dscnt 0xc0c
	v_mul_f32_e32 v53, v5, v78
	s_wait_loadcnt 0xb
	v_dual_mul_f32 v61, v135, v78 :: v_dual_mul_f32 v78, v4, v137
	s_wait_dscnt 0xb
	v_dual_mul_f32 v60, v15, v80 :: v_dual_fmac_f32 v55, v17, v50
	v_dual_fmac_f32 v49, v13, v48 :: v_dual_fmac_f32 v46, v18, v59
	s_wait_dscnt 0x9
	v_dual_mul_f32 v64, v134, v80 :: v_dual_mul_f32 v17, v176, v139
	v_mul_f32_e32 v13, v68, v137
	s_wait_loadcnt_dscnt 0x907
	v_dual_mul_f32 v71, v178, v141 :: v_dual_mul_f32 v18, v180, v147
	v_mul_f32_e32 v45, v67, v58
	v_fma_f32 v51, v66, v48, -v9
	v_fma_f32 v58, v62, v50, -v11
	;; [unrolled: 1-line block ×3, first 2 shown]
	s_wait_loadcnt 0x8
	v_dual_mul_f32 v65, v36, v139 :: v_dual_mul_f32 v80, v181, v149
	v_dual_mul_f32 v66, v177, v143 :: v_dual_fmac_f32 v45, v14, v57
	v_fma_f32 v48, v63, v59, -v47
	v_dual_mul_f32 v73, v38, v141 :: v_dual_fmac_f32 v64, v15, v79
	v_dual_mul_f32 v63, v179, v145 :: v_dual_fmac_f32 v78, v68, v136
	v_mul_f32_e32 v47, v32, v147
	s_wait_loadcnt 0x5
	v_dual_mul_f32 v9, v33, v149 :: v_dual_mul_f32 v68, v26, v163
	s_wait_dscnt 0x6
	v_dual_mul_f32 v81, v182, v151 :: v_dual_mul_f32 v50, v35, v157
	v_fma_f32 v62, v135, v77, -v53
	v_mul_f32_e32 v67, v30, v151
	s_wait_dscnt 0x3
	v_dual_fmac_f32 v61, v5, v77 :: v_dual_fmac_f32 v68, v188, v162
	v_dual_mul_f32 v5, v183, v155 :: v_dual_fmac_f32 v50, v185, v156
	v_fma_f32 v11, v134, v79, -v60
	v_mul_f32_e32 v77, v184, v153
	v_mul_f32_e32 v135, v186, v159
	v_fma_f32 v79, v4, v136, -v13
	v_mul_f32_e32 v4, v187, v161
	v_fma_f32 v32, v32, v146, -v18
	s_wait_loadcnt 0x4
	v_mul_f32_e32 v18, v189, v167
	v_dual_mul_f32 v57, v37, v143 :: v_dual_mul_f32 v60, v34, v153
	v_mul_f32_e32 v59, v31, v155
	v_fma_f32 v14, v36, v138, -v17
	v_fma_f32 v36, v37, v142, -v66
	;; [unrolled: 1-line block ×3, first 2 shown]
	v_mul_f32_e32 v38, v24, v165
	v_mul_f32_e32 v53, v28, v159
	v_fma_f32 v80, v33, v148, -v80
	v_fma_f32 v37, v31, v154, -v5
	;; [unrolled: 1-line block ×3, first 2 shown]
	s_wait_dscnt 0x2
	v_fmac_f32_e32 v38, v190, v164
	s_wait_loadcnt 0x3
	v_mul_f32_e32 v18, v191, v169
	v_fma_f32 v33, v28, v158, -v135
	v_fma_f32 v28, v29, v160, -v4
	ds_load_2addr_b32 v[4:5], v126 offset0:88 offset1:178
	v_mul_f32_e32 v13, v29, v161
	v_mul_f32_e32 v134, v185, v157
	v_fma_f32 v71, v39, v144, -v63
	v_fmac_f32_e32 v9, v181, v148
	v_fma_f32 v77, v34, v152, -v77
	v_dual_mul_f32 v34, v20, v171 :: v_dual_fmac_f32 v13, v187, v160
	v_mul_f32_e32 v63, v27, v167
	s_wait_dscnt 0x2
	v_mul_f32_e32 v27, v192, v171
	v_dual_mul_f32 v19, v39, v145 :: v_dual_fmac_f32 v60, v184, v152
	v_fmac_f32_e32 v65, v176, v138
	v_fma_f32 v15, v30, v150, -v81
	v_fma_f32 v30, v35, v156, -v134
	v_mul_f32_e32 v17, v188, v163
	v_fma_f32 v35, v20, v170, -v27
	s_wait_loadcnt 0x2
	v_dual_mul_f32 v20, v193, v173 :: v_dual_sub_f32 v139, v80, v28
	v_mul_f32_e32 v29, v190, v165
	v_fmac_f32_e32 v19, v179, v144
	v_fma_f32 v17, v26, v162, -v17
	v_mul_f32_e32 v31, v25, v169
	s_wait_loadcnt 0x1
	v_mul_f32_e32 v39, v22, v175
	v_fma_f32 v26, v24, v164, -v29
	v_fma_f32 v24, v25, v168, -v18
	s_wait_dscnt 0x0
	v_dual_mul_f32 v18, v21, v173 :: v_dual_mul_f32 v25, v4, v175
	s_wait_loadcnt 0x0
	v_mul_f32_e32 v27, v5, v3
	v_fma_f32 v21, v21, v172, -v20
	s_delay_alu instid0(VALU_DEP_3) | instskip(SKIP_1) | instid1(VALU_DEP_3)
	v_dual_fmac_f32 v47, v180, v146 :: v_dual_fmac_f32 v18, v193, v172
	v_fma_f32 v20, v22, v174, -v25
	v_dual_fmac_f32 v39, v4, v174 :: v_dual_add_f32 v148, v79, v21
	v_mul_f32_e32 v3, v23, v3
	v_sub_f32_e32 v22, v11, v14
	v_sub_f32_e32 v146, v15, v17
	v_fma_f32 v4, v23, v2, -v27
	v_sub_f32_e32 v23, v17, v15
	v_fmac_f32_e32 v57, v177, v142
	v_fmac_f32_e32 v59, v183, v154
	;; [unrolled: 1-line block ×3, first 2 shown]
	v_sub_f32_e32 v142, v9, v13
	v_add_f32_e32 v2, v22, v23
	v_mul_u32_u24_e32 v23, 0x78, v74
	v_dual_add_f32 v74, v14, v15 :: v_dual_fmac_f32 v63, v189, v166
	v_sub_f32_e32 v25, v79, v80
	v_sub_f32_e32 v27, v21, v28
	v_dual_fmac_f32 v73, v178, v140 :: v_dual_fmac_f32 v34, v192, v170
	s_delay_alu instid0(VALU_DEP_4) | instskip(SKIP_4) | instid1(VALU_DEP_4)
	v_fma_f32 v137, -0.5, v74, v10
	v_add_f32_e32 v74, v62, v79
	v_dual_fmac_f32 v53, v186, v158 :: v_dual_sub_f32 v140, v64, v68
	v_sub_f32_e32 v29, v78, v9
	v_sub_f32_e32 v81, v18, v13
	v_dual_add_f32 v74, v74, v80 :: v_dual_add_f32 v5, v25, v27
	v_add_f32_e32 v25, v9, v13
	v_lshlrev_b32_e32 v27, 2, v75
	s_delay_alu instid0(VALU_DEP_4) | instskip(NEXT) | instid1(VALU_DEP_4)
	v_dual_fmac_f32 v67, v182, v150 :: v_dual_add_f32 v22, v29, v81
	v_add_f32_e32 v74, v74, v28
	v_add_f32_e32 v29, v10, v11
	;; [unrolled: 1-line block ×3, first 2 shown]
	v_fma_f32 v135, -0.5, v25, v61
	v_sub_f32_e32 v25, v79, v21
	v_add3_u32 v134, 0, v23, v27
	v_dual_add_f32 v27, v74, v21 :: v_dual_sub_f32 v80, v80, v79
	v_dual_sub_f32 v21, v28, v21 :: v_dual_add_f32 v28, v78, v18
	v_dual_fmac_f32 v31, v191, v168 :: v_dual_sub_f32 v144, v65, v67
	v_fma_f32 v81, -0.5, v75, v62
	s_delay_alu instid0(VALU_DEP_3) | instskip(NEXT) | instid1(VALU_DEP_4)
	v_dual_add_f32 v21, v80, v21 :: v_dual_add_f32 v80, v61, v78
	v_dual_fmac_f32 v61, -0.5, v28 :: v_dual_sub_f32 v28, v9, v78
	v_dual_add_f32 v29, v29, v14 :: v_dual_fmac_f32 v62, -0.5, v148
	v_sub_f32_e32 v75, v78, v18
	v_sub_f32_e32 v78, v13, v18
	ds_load_b32 v136, v56
	ds_load_b32 v74, v116
	v_add_f32_e32 v29, v29, v15
	v_fmamk_f32 v79, v142, 0xbf737871, v62
	v_fmac_f32_e32 v62, 0x3f737871, v142
	v_add_f32_e32 v28, v28, v78
	global_wb scope:SCOPE_SE
	s_wait_dscnt 0x0
	v_add_f32_e32 v23, v29, v17
	v_dual_add_f32 v29, v11, v17 :: v_dual_fmac_f32 v62, 0xbf167918, v75
	s_barrier_signal -1
	s_barrier_wait -1
	global_inv scope:SCOPE_SE
	v_dual_fmac_f32 v10, -0.5, v29 :: v_dual_sub_f32 v29, v14, v11
	v_fmac_f32_e32 v62, 0x3e9e377a, v21
	v_fmac_f32_e32 v79, 0x3f167918, v75
	v_mul_lo_u16 v42, 0x89, v42
	s_delay_alu instid0(VALU_DEP_4) | instskip(SKIP_4) | instid1(VALU_DEP_4)
	v_fmamk_f32 v147, v144, 0xbf737871, v10
	v_dual_fmac_f32 v10, 0x3f737871, v144 :: v_dual_add_f32 v29, v29, v146
	v_fmamk_f32 v146, v139, 0x3f737871, v61
	v_fmac_f32_e32 v79, 0x3e9e377a, v21
	v_mul_f32_e32 v21, 0x3e9e377a, v62
	v_dual_fmac_f32 v10, 0xbf167918, v140 :: v_dual_add_f32 v149, v23, v27
	s_delay_alu instid0(VALU_DEP_4) | instskip(SKIP_1) | instid1(VALU_DEP_3)
	v_fmac_f32_e32 v146, 0xbf167918, v25
	v_fmac_f32_e32 v147, 0x3f167918, v140
	v_dual_sub_f32 v23, v23, v27 :: v_dual_fmac_f32 v10, 0x3e9e377a, v29
	v_fmamk_f32 v141, v75, 0x3f737871, v81
	v_fmac_f32_e32 v81, 0xbf737871, v75
	v_fmac_f32_e32 v146, 0x3e9e377a, v28
	v_fmamk_f32 v138, v25, 0xbf737871, v135
	v_fmac_f32_e32 v135, 0x3f737871, v25
	v_sub_f32_e32 v75, v60, v38
	v_dual_fmac_f32 v81, 0xbf167918, v142 :: v_dual_add_f32 v156, v64, v68
	s_delay_alu instid0(VALU_DEP_4) | instskip(NEXT) | instid1(VALU_DEP_4)
	v_fmac_f32_e32 v138, 0xbf167918, v139
	v_fmac_f32_e32 v135, 0x3f167918, v139
	s_delay_alu instid0(VALU_DEP_2) | instskip(NEXT) | instid1(VALU_DEP_2)
	v_dual_fmac_f32 v81, 0x3e9e377a, v5 :: v_dual_fmac_f32 v138, 0x3e9e377a, v22
	v_fmac_f32_e32 v135, 0x3e9e377a, v22
	s_delay_alu instid0(VALU_DEP_2) | instskip(SKIP_1) | instid1(VALU_DEP_4)
	v_mul_f32_e32 v22, 0x3f4f1bbd, v81
	v_fmac_f32_e32 v61, 0xbf737871, v139
	v_mul_f32_e32 v145, 0x3f167918, v138
	s_delay_alu instid0(VALU_DEP_2) | instskip(NEXT) | instid1(VALU_DEP_1)
	v_fmac_f32_e32 v61, 0x3f167918, v25
	v_fmac_f32_e32 v61, 0x3e9e377a, v28
	s_delay_alu instid0(VALU_DEP_1) | instskip(SKIP_1) | instid1(VALU_DEP_2)
	v_fma_f32 v21, 0x3f737871, v61, -v21
	v_fmamk_f32 v143, v140, 0x3f737871, v137
	v_dual_fmac_f32 v137, 0xbf737871, v140 :: v_dual_add_f32 v28, v10, v21
	s_delay_alu instid0(VALU_DEP_1) | instskip(SKIP_1) | instid1(VALU_DEP_2)
	v_dual_sub_f32 v10, v10, v21 :: v_dual_fmac_f32 v137, 0xbf167918, v144
	v_sub_f32_e32 v21, v20, v26
	v_fmac_f32_e32 v137, 0x3e9e377a, v2
	v_fmac_f32_e32 v143, 0x3f167918, v144
	s_delay_alu instid0(VALU_DEP_1) | instskip(SKIP_3) | instid1(VALU_DEP_3)
	v_fmac_f32_e32 v143, 0x3e9e377a, v2
	v_dual_fmac_f32 v141, 0x3f167918, v142 :: v_dual_sub_f32 v142, v57, v59
	v_fmac_f32_e32 v147, 0x3e9e377a, v29
	v_fma_f32 v2, 0x3f167918, v135, -v22
	v_fmac_f32_e32 v141, 0x3e9e377a, v5
	v_mul_f32_e32 v5, 0x3f737871, v146
	s_delay_alu instid0(VALU_DEP_3) | instskip(NEXT) | instid1(VALU_DEP_3)
	v_add_f32_e32 v27, v137, v2
	v_dual_sub_f32 v2, v137, v2 :: v_dual_fmac_f32 v145, 0x3f4f1bbd, v141
	s_delay_alu instid0(VALU_DEP_1) | instskip(NEXT) | instid1(VALU_DEP_1)
	v_dual_fmac_f32 v5, 0x3e9e377a, v79 :: v_dual_add_f32 v22, v143, v145
	v_add_f32_e32 v25, v147, v5
	v_sub_f32_e32 v29, v143, v145
	v_sub_f32_e32 v5, v147, v5
	ds_store_2addr_b32 v134, v149, v22 offset1:3
	ds_store_2addr_b32 v134, v25, v28 offset0:6 offset1:9
	ds_store_2addr_b32 v134, v27, v23 offset0:12 offset1:15
	;; [unrolled: 1-line block ×4, first 2 shown]
	v_sub_f32_e32 v2, v58, v36
	v_sub_f32_e32 v5, v66, v37
	v_dual_sub_f32 v27, v55, v63 :: v_dual_sub_f32 v10, v76, v77
	v_sub_f32_e32 v22, v73, v60
	v_add_f32_e32 v29, v51, v76
	s_delay_alu instid0(VALU_DEP_4)
	v_add_f32_e32 v5, v2, v5
	v_mul_u32_u24_e32 v2, 0x78, v16
	v_lshlrev_b32_e32 v16, 2, v69
	v_add_f32_e32 v10, v10, v21
	v_add_f32_e32 v29, v29, v77
	;; [unrolled: 1-line block ×4, first 2 shown]
	v_add3_u32 v2, 0, v2, v16
	s_delay_alu instid0(VALU_DEP_4) | instskip(SKIP_3) | instid1(VALU_DEP_4)
	v_dual_add_f32 v16, v36, v37 :: v_dual_add_f32 v29, v29, v26
	v_sub_f32_e32 v28, v77, v26
	v_sub_f32_e32 v145, v37, v66
	v_add_f32_e32 v149, v76, v20
	v_fma_f32 v16, -0.5, v16, v8
	v_add_f32_e32 v29, v29, v20
	v_fma_f32 v78, -0.5, v25, v51
	v_sub_f32_e32 v25, v73, v39
	s_delay_alu instid0(VALU_DEP_4) | instskip(SKIP_2) | instid1(VALU_DEP_4)
	v_dual_fmac_f32 v51, -0.5, v149 :: v_dual_fmamk_f32 v140, v27, 0x3f737871, v16
	v_fmac_f32_e32 v16, 0xbf737871, v27
	v_mul_f32_e32 v141, 0xbf167918, v141
	v_fmamk_f32 v139, v25, 0x3f737871, v78
	v_fmac_f32_e32 v78, 0xbf737871, v25
	v_fmac_f32_e32 v140, 0x3f167918, v142
	;; [unrolled: 1-line block ×3, first 2 shown]
	v_sub_f32_e32 v23, v39, v38
	v_fmac_f32_e32 v141, 0x3f4f1bbd, v138
	v_fmac_f32_e32 v78, 0xbf167918, v75
	;; [unrolled: 1-line block ×3, first 2 shown]
	s_delay_alu instid0(VALU_DEP_4) | instskip(SKIP_3) | instid1(VALU_DEP_3)
	v_dual_fmac_f32 v16, 0x3e9e377a, v5 :: v_dual_add_f32 v21, v22, v23
	v_add_f32_e32 v22, v8, v58
	v_fmac_f32_e32 v8, -0.5, v143
	v_dual_fmac_f32 v78, 0x3e9e377a, v10 :: v_dual_mul_f32 v61, 0x3e9e377a, v61
	v_add_f32_e32 v22, v22, v36
	s_delay_alu instid0(VALU_DEP_3) | instskip(SKIP_1) | instid1(VALU_DEP_4)
	v_fmamk_f32 v148, v142, 0xbf737871, v8
	v_fmac_f32_e32 v8, 0x3f737871, v142
	v_fma_f32 v61, 0xbf737871, v62, -v61
	s_delay_alu instid0(VALU_DEP_4) | instskip(NEXT) | instid1(VALU_DEP_3)
	v_add_f32_e32 v22, v22, v37
	v_fmac_f32_e32 v8, 0xbf167918, v27
	s_delay_alu instid0(VALU_DEP_2) | instskip(SKIP_1) | instid1(VALU_DEP_2)
	v_add_f32_e32 v22, v22, v66
	v_add_f32_e32 v23, v60, v38
	;; [unrolled: 1-line block ×3, first 2 shown]
	v_sub_f32_e32 v22, v22, v29
	s_delay_alu instid0(VALU_DEP_3)
	v_fma_f32 v69, -0.5, v23, v49
	v_sub_f32_e32 v23, v76, v20
	v_sub_f32_e32 v20, v26, v20
	v_add_f32_e32 v26, v73, v39
	v_sub_f32_e32 v29, v50, v31
	v_sub_f32_e32 v143, v36, v58
	v_fmamk_f32 v137, v23, 0xbf737871, v69
	v_dual_fmac_f32 v69, 0x3f737871, v23 :: v_dual_sub_f32 v76, v77, v76
	v_fmamk_f32 v77, v75, 0xbf737871, v51
	s_delay_alu instid0(VALU_DEP_4)
	v_add_f32_e32 v143, v143, v145
	v_add_f32_e32 v145, v49, v73
	v_fmac_f32_e32 v49, -0.5, v26
	v_fmac_f32_e32 v137, 0xbf167918, v28
	v_fmac_f32_e32 v69, 0x3f167918, v28
	v_add_f32_e32 v20, v76, v20
	v_sub_f32_e32 v26, v60, v73
	v_fmamk_f32 v149, v28, 0x3f737871, v49
	v_dual_fmac_f32 v49, 0xbf737871, v28 :: v_dual_sub_f32 v28, v47, v53
	v_fmac_f32_e32 v51, 0x3f737871, v75
	v_sub_f32_e32 v73, v38, v39
	v_fmac_f32_e32 v77, 0x3f167918, v25
	s_delay_alu instid0(VALU_DEP_4) | instskip(SKIP_2) | instid1(VALU_DEP_4)
	v_fmac_f32_e32 v49, 0x3f167918, v23
	v_fmac_f32_e32 v8, 0x3e9e377a, v143
	;; [unrolled: 1-line block ×3, first 2 shown]
	v_dual_add_f32 v26, v26, v73 :: v_dual_fmac_f32 v77, 0x3e9e377a, v20
	v_fmac_f32_e32 v149, 0xbf167918, v23
	v_lshlrev_b32_e32 v7, 2, v7
	s_delay_alu instid0(VALU_DEP_4) | instskip(NEXT) | instid1(VALU_DEP_4)
	v_fmac_f32_e32 v51, 0x3e9e377a, v20
	v_fmac_f32_e32 v49, 0x3e9e377a, v26
	v_add_f32_e32 v73, v48, v35
	v_fmac_f32_e32 v149, 0x3e9e377a, v26
	v_add3_u32 v76, 0, v12, v7
	v_mul_f32_e32 v20, 0x3e9e377a, v51
	v_add_f32_e32 v7, v50, v31
	v_dual_mul_f32 v79, 0xbf737871, v79 :: v_dual_sub_f32 v58, v58, v66
	v_sub_f32_e32 v36, v36, v37
	s_delay_alu instid0(VALU_DEP_4) | instskip(NEXT) | instid1(VALU_DEP_3)
	v_fma_f32 v20, 0x3f737871, v49, -v20
	v_dual_add_f32 v66, v55, v63 :: v_dual_fmac_f32 v79, 0x3e9e377a, v146
	s_delay_alu instid0(VALU_DEP_2) | instskip(SKIP_3) | instid1(VALU_DEP_1)
	v_add_f32_e32 v23, v8, v20
	v_dual_sub_f32 v8, v8, v20 :: v_dual_fmac_f32 v137, 0x3e9e377a, v21
	v_fmac_f32_e32 v69, 0x3e9e377a, v21
	v_dual_mul_f32 v21, 0x3f4f1bbd, v78 :: v_dual_sub_f32 v20, v4, v24
	v_fma_f32 v5, 0x3f167918, v69, -v21
	s_delay_alu instid0(VALU_DEP_1) | instskip(SKIP_1) | instid1(VALU_DEP_1)
	v_add_f32_e32 v25, v16, v5
	v_dual_sub_f32 v5, v16, v5 :: v_dual_sub_f32 v16, v71, v30
	v_add_f32_e32 v16, v16, v20
	v_add_f32_e32 v20, v6, v48
	v_fmac_f32_e32 v148, 0x3f167918, v27
	s_delay_alu instid0(VALU_DEP_2) | instskip(SKIP_2) | instid1(VALU_DEP_4)
	v_add_f32_e32 v12, v20, v32
	v_add_f32_e32 v20, v44, v71
	v_fmac_f32_e32 v139, 0x3f167918, v75
	v_fmac_f32_e32 v148, 0x3e9e377a, v143
	s_delay_alu instid0(VALU_DEP_4) | instskip(NEXT) | instid1(VALU_DEP_4)
	v_add_f32_e32 v12, v12, v33
	v_add_f32_e32 v20, v20, v30
	s_delay_alu instid0(VALU_DEP_4) | instskip(SKIP_1) | instid1(VALU_DEP_4)
	v_fmac_f32_e32 v139, 0x3e9e377a, v10
	v_mul_f32_e32 v10, 0x3f737871, v149
	v_add_f32_e32 v12, v12, v35
	s_delay_alu instid0(VALU_DEP_4) | instskip(SKIP_1) | instid1(VALU_DEP_4)
	v_add_f32_e32 v20, v20, v24
	v_mul_f32_e32 v144, 0x3f167918, v137
	v_fmac_f32_e32 v10, 0x3e9e377a, v77
	s_delay_alu instid0(VALU_DEP_3) | instskip(NEXT) | instid1(VALU_DEP_2)
	v_add_f32_e32 v20, v20, v4
	v_dual_fmac_f32 v144, 0x3f4f1bbd, v139 :: v_dual_add_f32 v21, v148, v10
	v_sub_f32_e32 v10, v148, v10
	s_delay_alu instid0(VALU_DEP_3) | instskip(NEXT) | instid1(VALU_DEP_3)
	v_add_f32_e32 v151, v12, v20
	v_add_f32_e32 v150, v140, v144
	v_sub_f32_e32 v26, v140, v144
	ds_store_2addr_b32 v2, v21, v23 offset0:6 offset1:9
	v_fma_f32 v140, -0.5, v7, v45
	v_sub_f32_e32 v7, v71, v4
	v_sub_f32_e32 v21, v48, v32
	;; [unrolled: 1-line block ×3, first 2 shown]
	ds_store_2addr_b32 v2, v147, v150 offset1:3
	ds_store_2addr_b32 v2, v25, v22 offset0:12 offset1:15
	ds_store_2addr_b32 v2, v26, v10 offset0:18 offset1:21
	v_dual_sub_f32 v22, v3, v31 :: v_dual_sub_f32 v25, v46, v34
	v_dual_fmamk_f32 v143, v7, 0xbf737871, v140 :: v_dual_sub_f32 v26, v30, v24
	v_add_f32_e32 v150, v71, v4
	v_sub_f32_e32 v4, v24, v4
	v_fmac_f32_e32 v140, 0x3f737871, v7
	v_dual_add_f32 v10, v21, v23 :: v_dual_sub_f32 v21, v19, v50
	v_dual_add_f32 v23, v30, v24 :: v_dual_add_f32 v24, v19, v3
	v_sub_f32_e32 v147, v33, v35
	s_delay_alu instid0(VALU_DEP_3) | instskip(SKIP_1) | instid1(VALU_DEP_4)
	v_dual_sub_f32 v30, v30, v71 :: v_dual_add_f32 v21, v21, v22
	v_add_f32_e32 v22, v32, v33
	v_fma_f32 v142, -0.5, v23, v44
	v_fmac_f32_e32 v44, -0.5, v150
	v_dual_add_f32 v150, v45, v19 :: v_dual_fmac_f32 v45, -0.5, v24
	s_delay_alu instid0(VALU_DEP_4)
	v_fma_f32 v22, -0.5, v22, v6
	v_dual_sub_f32 v23, v19, v3 :: v_dual_fmac_f32 v6, -0.5, v73
	v_sub_f32_e32 v73, v32, v48
	v_sub_f32_e32 v19, v50, v19
	;; [unrolled: 1-line block ×3, first 2 shown]
	v_dual_fmamk_f32 v152, v26, 0x3f737871, v45 :: v_dual_sub_f32 v35, v48, v35
	s_delay_alu instid0(VALU_DEP_4) | instskip(SKIP_1) | instid1(VALU_DEP_4)
	v_add_f32_e32 v73, v73, v147
	v_dual_sub_f32 v48, v46, v47 :: v_dual_fmamk_f32 v147, v29, 0xbf737871, v44
	v_dual_fmac_f32 v44, 0x3f737871, v29 :: v_dual_add_f32 v19, v19, v24
	s_delay_alu instid0(VALU_DEP_4) | instskip(SKIP_1) | instid1(VALU_DEP_4)
	v_fmac_f32_e32 v152, 0xbf167918, v7
	v_fmamk_f32 v148, v28, 0xbf737871, v6
	v_dual_add_f32 v4, v30, v4 :: v_dual_fmac_f32 v147, 0x3f167918, v23
	s_delay_alu instid0(VALU_DEP_4) | instskip(NEXT) | instid1(VALU_DEP_4)
	v_fmac_f32_e32 v44, 0xbf167918, v23
	v_fmac_f32_e32 v152, 0x3e9e377a, v19
	s_delay_alu instid0(VALU_DEP_4)
	v_fmac_f32_e32 v148, 0x3f167918, v25
	v_fmac_f32_e32 v45, 0xbf737871, v26
	v_fmac_f32_e32 v147, 0x3e9e377a, v4
	v_fmac_f32_e32 v44, 0x3e9e377a, v4
	v_mul_f32_e32 v4, 0x3f737871, v152
	v_fmac_f32_e32 v6, 0x3f737871, v28
	v_fmac_f32_e32 v148, 0x3e9e377a, v73
	;; [unrolled: 1-line block ×3, first 2 shown]
	v_sub_f32_e32 v12, v12, v20
	v_fmac_f32_e32 v4, 0x3e9e377a, v147
	v_fmac_f32_e32 v45, 0x3f167918, v7
	v_mul_f32_e32 v7, 0x3e9e377a, v44
	v_dual_add_f32 v60, v145, v60 :: v_dual_mul_f32 v49, 0x3e9e377a, v49
	s_delay_alu instid0(VALU_DEP_3)
	v_dual_sub_f32 v32, v32, v33 :: v_dual_fmac_f32 v45, 0x3e9e377a, v19
	v_add_f32_e32 v19, v148, v4
	v_sub_f32_e32 v4, v148, v4
	v_fmac_f32_e32 v6, 0xbf167918, v25
	v_add_f32_e32 v38, v60, v38
	v_fma_f32 v7, 0x3f737871, v45, -v7
	v_add_f32_e32 v50, v150, v50
	s_delay_alu instid0(VALU_DEP_4)
	v_fmac_f32_e32 v6, 0x3e9e377a, v73
	v_fmamk_f32 v27, v25, 0x3f737871, v22
	v_fmac_f32_e32 v22, 0xbf737871, v25
	v_fmac_f32_e32 v140, 0x3e9e377a, v21
	v_add_f32_e32 v38, v38, v39
	v_fma_f32 v39, 0xbf737871, v51, -v49
	s_delay_alu instid0(VALU_DEP_4) | instskip(NEXT) | instid1(VALU_DEP_1)
	v_dual_add_f32 v31, v50, v31 :: v_dual_fmac_f32 v22, 0xbf167918, v28
	v_dual_add_f32 v3, v31, v3 :: v_dual_fmac_f32 v22, 0x3e9e377a, v10
	v_fmamk_f32 v144, v23, 0x3f737871, v142
	v_fmac_f32_e32 v142, 0xbf737871, v23
	s_delay_alu instid0(VALU_DEP_2) | instskip(NEXT) | instid1(VALU_DEP_2)
	v_dual_fmac_f32 v27, 0x3f167918, v28 :: v_dual_fmac_f32 v144, 0x3f167918, v29
	v_fmac_f32_e32 v142, 0xbf167918, v29
	s_delay_alu instid0(VALU_DEP_2) | instskip(NEXT) | instid1(VALU_DEP_2)
	v_dual_fmac_f32 v27, 0x3e9e377a, v10 :: v_dual_fmac_f32 v144, 0x3e9e377a, v16
	v_fmac_f32_e32 v142, 0x3e9e377a, v16
	s_delay_alu instid0(VALU_DEP_1) | instskip(NEXT) | instid1(VALU_DEP_1)
	v_mul_f32_e32 v16, 0x3f4f1bbd, v142
	v_fma_f32 v10, 0x3f167918, v140, -v16
	s_delay_alu instid0(VALU_DEP_1) | instskip(SKIP_1) | instid1(VALU_DEP_1)
	v_add_f32_e32 v20, v22, v10
	v_fmac_f32_e32 v143, 0xbf167918, v26
	v_fmac_f32_e32 v143, 0x3e9e377a, v21
	v_add_f32_e32 v21, v6, v7
	s_delay_alu instid0(VALU_DEP_2) | instskip(NEXT) | instid1(VALU_DEP_1)
	v_mul_f32_e32 v75, 0x3f167918, v143
	v_fmac_f32_e32 v75, 0x3f4f1bbd, v144
	s_delay_alu instid0(VALU_DEP_1)
	v_add_f32_e32 v16, v27, v75
	v_sub_f32_e32 v23, v27, v75
	ds_store_2addr_b32 v2, v8, v5 offset0:24 offset1:27
	ds_store_2addr_b32 v76, v151, v16 offset1:3
	ds_store_2addr_b32 v76, v19, v21 offset0:6 offset1:9
	ds_store_2addr_b32 v76, v20, v12 offset0:12 offset1:15
	;; [unrolled: 1-line block ×3, first 2 shown]
	v_add_f32_e32 v5, v65, v67
	v_dual_sub_f32 v4, v6, v7 :: v_dual_add_f32 v7, v80, v9
	v_sub_f32_e32 v80, v11, v17
	v_add_f32_e32 v8, v136, v64
	s_delay_alu instid0(VALU_DEP_4) | instskip(SKIP_2) | instid1(VALU_DEP_4)
	v_fma_f32 v148, -0.5, v5, v136
	v_sub_f32_e32 v5, v64, v65
	v_sub_f32_e32 v9, v68, v67
	v_dual_sub_f32 v151, v14, v15 :: v_dual_add_f32 v8, v8, v65
	s_delay_alu instid0(VALU_DEP_4) | instskip(SKIP_1) | instid1(VALU_DEP_3)
	v_fmamk_f32 v153, v80, 0xbf737871, v148
	v_dual_fmac_f32 v136, -0.5, v156 :: v_dual_add_f32 v7, v7, v13
	v_dual_add_f32 v154, v5, v9 :: v_dual_add_f32 v5, v8, v67
	s_delay_alu instid0(VALU_DEP_3) | instskip(SKIP_1) | instid1(VALU_DEP_4)
	v_dual_fmac_f32 v153, 0xbf167918, v151 :: v_dual_sub_f32 v64, v65, v64
	v_sub_f32_e32 v65, v67, v68
	v_fmamk_f32 v67, v151, 0x3f737871, v136
	v_fmac_f32_e32 v136, 0xbf737871, v151
	v_dual_fmac_f32 v148, 0x3f737871, v80 :: v_dual_add_f32 v155, v7, v18
	v_dual_add_f32 v138, v5, v68 :: v_dual_fmac_f32 v153, 0x3e9e377a, v154
	s_delay_alu instid0(VALU_DEP_4) | instskip(NEXT) | instid1(VALU_DEP_4)
	v_dual_add_f32 v64, v64, v65 :: v_dual_fmac_f32 v67, 0xbf167918, v80
	v_fmac_f32_e32 v136, 0x3f167918, v80
	s_delay_alu instid0(VALU_DEP_4)
	v_fmac_f32_e32 v148, 0x3f167918, v151
	v_mul_f32_e32 v80, 0x3f4f1bbd, v135
	v_sub_f32_e32 v6, v22, v10
	v_dual_add_f32 v65, v138, v155 :: v_dual_add_f32 v68, v153, v141
	v_fmac_f32_e32 v67, 0x3e9e377a, v64
	v_fmac_f32_e32 v136, 0x3e9e377a, v64
	;; [unrolled: 1-line block ×3, first 2 shown]
	v_fma_f32 v62, 0xbf167918, v81, -v80
	ds_store_2addr_b32 v76, v4, v6 offset0:24 offset1:27
	global_wb scope:SCOPE_SE
	s_wait_dscnt 0x0
	s_barrier_signal -1
	s_barrier_wait -1
	global_inv scope:SCOPE_SE
	ds_load_b32 v73, v128
	ds_load_b32 v30, v56
	;; [unrolled: 1-line block ×6, first 2 shown]
	ds_load_2addr_b32 v[24:25], v115 offset0:56 offset1:146
	ds_load_2addr_b32 v[16:17], v117 offset0:108 offset1:198
	;; [unrolled: 1-line block ×12, first 2 shown]
	global_wb scope:SCOPE_SE
	s_wait_dscnt 0x0
	s_barrier_signal -1
	s_barrier_wait -1
	global_inv scope:SCOPE_SE
	ds_store_2addr_b32 v134, v65, v68 offset1:3
	v_dual_add_f32 v64, v67, v79 :: v_dual_add_f32 v65, v136, v61
	v_sub_f32_e32 v68, v138, v155
	v_dual_add_f32 v80, v148, v62 :: v_dual_sub_f32 v81, v153, v141
	v_sub_f32_e32 v67, v67, v79
	ds_store_2addr_b32 v134, v64, v65 offset0:6 offset1:9
	ds_store_2addr_b32 v134, v80, v68 offset0:12 offset1:15
	v_dual_add_f32 v64, v74, v55 :: v_dual_sub_f32 v61, v136, v61
	v_sub_f32_e32 v62, v148, v62
	ds_store_2addr_b32 v134, v81, v67 offset0:18 offset1:21
	ds_store_2addr_b32 v134, v61, v62 offset0:24 offset1:27
	v_dual_add_f32 v62, v64, v57 :: v_dual_add_f32 v65, v57, v59
	v_sub_f32_e32 v61, v55, v57
	v_sub_f32_e32 v64, v63, v59
	;; [unrolled: 1-line block ×3, first 2 shown]
	s_delay_alu instid0(VALU_DEP_4) | instskip(SKIP_4) | instid1(VALU_DEP_4)
	v_add_f32_e32 v37, v62, v59
	v_fma_f32 v62, -0.5, v65, v74
	v_sub_f32_e32 v57, v59, v63
	v_dual_add_f32 v61, v61, v64 :: v_dual_fmac_f32 v74, -0.5, v66
	v_mul_f32_e32 v31, 0x3e9e377a, v45
	v_fmamk_f32 v59, v58, 0xbf737871, v62
	v_fmac_f32_e32 v62, 0x3f737871, v58
	s_delay_alu instid0(VALU_DEP_3) | instskip(NEXT) | instid1(VALU_DEP_3)
	v_fma_f32 v31, 0xbf737871, v44, -v31
	v_fmac_f32_e32 v59, 0xbf167918, v36
	s_delay_alu instid0(VALU_DEP_3) | instskip(NEXT) | instid1(VALU_DEP_2)
	v_fmac_f32_e32 v62, 0x3f167918, v36
	v_fmac_f32_e32 v59, 0x3e9e377a, v61
	s_delay_alu instid0(VALU_DEP_2) | instskip(SKIP_1) | instid1(VALU_DEP_1)
	v_fmac_f32_e32 v62, 0x3e9e377a, v61
	v_sub_f32_e32 v61, v34, v53
	v_dual_add_f32 v48, v48, v61 :: v_dual_add_f32 v37, v37, v63
	v_fmamk_f32 v63, v36, 0x3f737871, v74
	v_fmac_f32_e32 v74, 0xbf737871, v36
	v_add_f32_e32 v36, v55, v57
	v_mul_f32_e32 v55, 0xbf737871, v77
	v_mul_f32_e32 v57, 0x3f4f1bbd, v69
	v_fmac_f32_e32 v63, 0xbf167918, v58
	v_fmac_f32_e32 v74, 0x3f167918, v58
	v_add_f32_e32 v51, v37, v38
	v_fmac_f32_e32 v55, 0x3e9e377a, v149
	v_fma_f32 v49, 0xbf167918, v78, -v57
	v_fmac_f32_e32 v63, 0x3e9e377a, v36
	v_fmac_f32_e32 v74, 0x3e9e377a, v36
	v_dual_mul_f32 v36, 0xbf167918, v139 :: v_dual_sub_f32 v37, v37, v38
	s_delay_alu instid0(VALU_DEP_3) | instskip(NEXT) | instid1(VALU_DEP_2)
	v_dual_add_f32 v60, v62, v49 :: v_dual_add_f32 v57, v63, v55
	v_dual_sub_f32 v55, v63, v55 :: v_dual_fmac_f32 v36, 0x3f4f1bbd, v137
	v_sub_f32_e32 v49, v62, v49
	v_dual_add_f32 v62, v47, v53 :: v_dual_add_f32 v63, v46, v34
	v_lshrrev_b16 v69, 12, v42
	s_delay_alu instid0(VALU_DEP_4)
	v_add_f32_e32 v38, v59, v36
	v_sub_f32_e32 v36, v59, v36
	v_add_f32_e32 v59, v43, v46
	v_sub_f32_e32 v46, v47, v46
	v_add_f32_e32 v58, v74, v39
	ds_store_2addr_b32 v2, v51, v38 offset1:3
	ds_store_2addr_b32 v2, v57, v58 offset0:6 offset1:9
	ds_store_2addr_b32 v2, v60, v37 offset0:12 offset1:15
	;; [unrolled: 1-line block ×3, first 2 shown]
	v_add_f32_e32 v59, v59, v47
	v_mul_lo_u16 v36, 0x89, v40
	v_sub_f32_e32 v39, v74, v39
	s_delay_alu instid0(VALU_DEP_3) | instskip(SKIP_3) | instid1(VALU_DEP_4)
	v_add_f32_e32 v33, v59, v53
	v_fma_f32 v59, -0.5, v62, v43
	v_fmac_f32_e32 v43, -0.5, v63
	v_lshrrev_b16 v66, 12, v36
	v_add_f32_e32 v33, v33, v34
	s_delay_alu instid0(VALU_DEP_4)
	v_dual_sub_f32 v34, v53, v34 :: v_dual_fmamk_f32 v47, v35, 0xbf737871, v59
	v_fmac_f32_e32 v59, 0x3f737871, v35
	v_fmamk_f32 v53, v32, 0x3f737871, v43
	v_fmac_f32_e32 v43, 0xbf737871, v32
	v_add_f32_e32 v45, v33, v3
	v_fmac_f32_e32 v47, 0xbf167918, v32
	v_dual_fmac_f32 v59, 0x3f167918, v32 :: v_dual_add_f32 v32, v46, v34
	s_delay_alu instid0(VALU_DEP_4)
	v_fmac_f32_e32 v43, 0x3f167918, v35
	v_fmac_f32_e32 v53, 0xbf167918, v35
	v_mul_lo_u16 v46, v69, 30
	v_mul_f32_e32 v34, 0xbf167918, v144
	v_mul_f32_e32 v35, 0xbf737871, v147
	v_fmac_f32_e32 v43, 0x3e9e377a, v32
	v_fmac_f32_e32 v53, 0x3e9e377a, v32
	v_dual_mul_f32 v32, 0x3f4f1bbd, v140 :: v_dual_sub_f32 v3, v33, v3
	v_fmac_f32_e32 v47, 0x3e9e377a, v48
	s_delay_alu instid0(VALU_DEP_4)
	v_add_f32_e32 v33, v43, v31
	v_sub_f32_e32 v31, v43, v31
	v_sub_nc_u16 v43, v101, v46
	v_fmac_f32_e32 v34, 0x3f4f1bbd, v143
	v_fmac_f32_e32 v35, 0x3e9e377a, v152
	;; [unrolled: 1-line block ×3, first 2 shown]
	v_fma_f32 v32, 0xbf167918, v142, -v32
	s_delay_alu instid0(VALU_DEP_4) | instskip(NEXT) | instid1(VALU_DEP_4)
	v_dual_add_f32 v44, v47, v34 :: v_dual_and_b32 v67, 0xff, v43
	v_add_f32_e32 v42, v53, v35
	v_sub_f32_e32 v34, v47, v34
	s_delay_alu instid0(VALU_DEP_4)
	v_add_f32_e32 v47, v59, v32
	ds_store_2addr_b32 v2, v39, v49 offset0:24 offset1:27
	ds_store_2addr_b32 v76, v45, v44 offset1:3
	ds_store_2addr_b32 v76, v42, v33 offset0:6 offset1:9
	ds_store_2addr_b32 v76, v47, v3 offset0:12 offset1:15
	v_mul_u32_u24_e32 v2, 9, v67
	v_mul_lo_u16 v3, v66, 30
	v_dual_sub_f32 v35, v53, v35 :: v_dual_sub_f32 v32, v59, v32
	ds_store_2addr_b32 v76, v34, v35 offset0:18 offset1:21
	ds_store_2addr_b32 v76, v31, v32 offset0:24 offset1:27
	v_lshlrev_b32_e32 v2, 3, v2
	v_sub_nc_u16 v3, v131, v3
	global_wb scope:SCOPE_SE
	s_wait_dscnt 0x0
	s_barrier_signal -1
	s_barrier_wait -1
	global_inv scope:SCOPE_SE
	v_mul_u32_u24_e32 v31, 0x8889, v41
	s_clause 0x1
	global_load_b128 v[35:38], v2, s[4:5] offset:216
	global_load_b128 v[39:42], v2, s[4:5] offset:232
	v_and_b32_e32 v68, 0xff, v3
	v_lshrrev_b32_e32 v31, 20, v31
	s_delay_alu instid0(VALU_DEP_2) | instskip(SKIP_1) | instid1(VALU_DEP_3)
	v_mul_u32_u24_e32 v3, 9, v68
	v_lshlrev_b32_e32 v68, 2, v68
	v_mul_lo_u16 v32, v31, 30
	s_delay_alu instid0(VALU_DEP_3) | instskip(NEXT) | instid1(VALU_DEP_2)
	v_lshlrev_b32_e32 v3, 3, v3
	v_sub_nc_u16 v32, v130, v32
	s_clause 0x1
	global_load_b128 v[44:47], v3, s[4:5] offset:216
	global_load_b128 v[62:65], v3, s[4:5] offset:232
	v_and_b32_e32 v33, 0xffff, v32
	s_delay_alu instid0(VALU_DEP_1) | instskip(NEXT) | instid1(VALU_DEP_1)
	v_mul_u32_u24_e32 v32, 9, v33
	v_lshlrev_b32_e32 v32, 3, v32
	s_clause 0xa
	global_load_b128 v[76:79], v32, s[4:5] offset:216
	global_load_b128 v[134:137], v32, s[4:5] offset:232
	;; [unrolled: 1-line block ×8, first 2 shown]
	global_load_b64 v[80:81], v2, s[4:5] offset:280
	global_load_b64 v[162:163], v3, s[4:5] offset:280
	;; [unrolled: 1-line block ×3, first 2 shown]
	ds_load_b32 v32, v127
	ds_load_b32 v43, v129
	;; [unrolled: 1-line block ×3, first 2 shown]
	ds_load_2addr_b32 v[59:60], v115 offset0:56 offset1:146
	ds_load_2addr_b32 v[164:165], v133 offset0:104 offset1:194
	ds_load_b32 v34, v123
	ds_load_2addr_b32 v[132:133], v132 offset0:118 offset1:208
	s_wait_loadcnt_dscnt 0xe06
	v_mul_f32_e32 v49, v32, v36
	v_mul_f32_e32 v51, v75, v36
	s_wait_dscnt 0x5
	v_mul_f32_e32 v36, v43, v38
	v_mul_f32_e32 v58, v71, v38
	s_wait_loadcnt 0xd
	v_mul_f32_e32 v61, v24, v42
	v_fma_f32 v50, v75, v35, -v49
	ds_load_2addr_b32 v[74:75], v122 offset0:132 offset1:222
	v_fmac_f32_e32 v51, v32, v35
	v_fma_f32 v32, v71, v37, -v36
	s_wait_dscnt 0x4
	v_dual_mul_f32 v36, v59, v42 :: v_dual_mul_f32 v35, v48, v40
	v_dual_mul_f32 v71, v73, v40 :: v_dual_fmac_f32 v58, v43, v37
	s_delay_alu instid0(VALU_DEP_2) | instskip(NEXT) | instid1(VALU_DEP_3)
	v_fma_f32 v24, v24, v41, -v36
	v_fma_f32 v73, v73, v39, -v35
	s_delay_alu instid0(VALU_DEP_3)
	v_fmac_f32_e32 v71, v48, v39
	s_wait_loadcnt_dscnt 0xc01
	v_mul_f32_e32 v36, v132, v47
	v_mul_f32_e32 v35, v164, v45
	v_dual_mul_f32 v42, v22, v45 :: v_dual_mul_f32 v45, v20, v47
	v_fmac_f32_e32 v61, v59, v41
	s_delay_alu instid0(VALU_DEP_4)
	v_fma_f32 v48, v20, v46, -v36
	s_wait_loadcnt 0xb
	v_mul_f32_e32 v20, v60, v65
	v_fma_f32 v41, v22, v44, -v35
	v_mul_f32_e32 v22, v26, v63
	s_wait_loadcnt_dscnt 0xa00
	v_dual_mul_f32 v35, v74, v63 :: v_dual_mul_f32 v36, v23, v77
	v_fma_f32 v49, v25, v64, -v20
	v_mul_f32_e32 v20, v165, v77
	v_fmac_f32_e32 v42, v164, v44
	ds_load_2addr_b32 v[43:44], v117 offset0:108 offset1:198
	v_mul_f32_e32 v47, v25, v65
	v_fma_f32 v25, v26, v62, -v35
	v_fmac_f32_e32 v22, v74, v62
	v_fma_f32 v35, v23, v76, -v20
	v_fmac_f32_e32 v36, v165, v76
	ds_load_2addr_b32 v[62:63], v125 offset0:160 offset1:250
	ds_load_2addr_b32 v[76:77], v120 offset0:112 offset1:202
	v_fmac_f32_e32 v47, v60, v64
	ds_load_2addr_b32 v[59:60], v118 offset0:84 offset1:174
	v_mul_f32_e32 v37, v133, v79
	s_wait_loadcnt 0x9
	v_mul_f32_e32 v20, v27, v135
	s_wait_loadcnt 0x7
	;; [unrolled: 2-line block ×3, first 2 shown]
	v_mul_f32_e32 v65, v8, v153
	v_mul_f32_e32 v38, v16, v137
	v_fma_f32 v39, v21, v78, -v37
	v_mul_f32_e32 v37, v21, v79
	v_mul_f32_e32 v21, v75, v135
	v_fmac_f32_e32 v20, v75, v134
	ds_load_2addr_b32 v[74:75], v119 offset0:8 offset1:98
	s_wait_dscnt 0x4
	v_mul_f32_e32 v23, v43, v137
	v_fmac_f32_e32 v38, v43, v136
	v_mul_f32_e32 v55, v15, v145
	v_fma_f32 v21, v27, v134, -v21
	v_fmac_f32_e32 v37, v133, v78
	v_fma_f32 v40, v16, v136, -v23
	s_wait_dscnt 0x3
	v_fmac_f32_e32 v53, v62, v142
	s_wait_dscnt 0x2
	v_fmac_f32_e32 v65, v76, v152
	v_mul_f32_e32 v23, v44, v139
	s_wait_dscnt 0x1
	v_dual_mul_f32 v16, v17, v139 :: v_dual_mul_f32 v27, v59, v141
	v_mul_f32_e32 v64, v14, v141
	v_sub_f32_e32 v136, v58, v65
	v_mul_f32_e32 v43, v60, v145
	v_fma_f32 v26, v17, v138, -v23
	v_mul_f32_e32 v17, v63, v147
	v_fmac_f32_e32 v45, v132, v46
	v_fmac_f32_e32 v16, v44, v138
	v_fma_f32 v57, v15, v144, -v43
	v_mul_f32_e32 v15, v62, v143
	v_mul_f32_e32 v43, v19, v147
	v_fma_f32 v14, v14, v140, -v27
	ds_load_2addr_b32 v[78:79], v124 offset0:60 offset1:150
	v_mul_f32_e32 v44, v10, v149
	v_fma_f32 v23, v18, v142, -v15
	v_fma_f32 v18, v19, v146, -v17
	s_wait_dscnt 0x1
	v_mul_f32_e32 v17, v74, v149
	v_mul_f32_e32 v19, v75, v151
	;; [unrolled: 1-line block ×3, first 2 shown]
	ds_load_2addr_b32 v[132:133], v121 offset0:36 offset1:126
	v_fmac_f32_e32 v64, v59, v140
	v_fma_f32 v46, v10, v148, -v17
	v_fma_f32 v27, v11, v150, -v19
	ds_load_2addr_b32 v[10:11], v126 offset0:88 offset1:178
	v_fmac_f32_e32 v55, v60, v144
	v_fmac_f32_e32 v15, v75, v150
	s_wait_loadcnt 0x4
	v_mul_f32_e32 v19, v77, v157
	v_dual_fmac_f32 v43, v63, v146 :: v_dual_fmac_f32 v44, v74, v148
	v_dual_mul_f32 v62, v9, v157 :: v_dual_sub_f32 v135, v26, v27
	s_delay_alu instid0(VALU_DEP_3)
	v_fma_f32 v63, v9, v156, -v19
	s_wait_dscnt 0x2
	v_mul_f32_e32 v59, v78, v155
	s_wait_loadcnt 0x3
	v_dual_mul_f32 v9, v4, v161 :: v_dual_fmac_f32 v62, v77, v156
	v_sub_f32_e32 v138, v16, v15
	v_lshlrev_b32_e32 v67, 2, v67
	v_fma_f32 v19, v12, v154, -v59
	v_mul_f32_e32 v59, v12, v155
	s_wait_dscnt 0x1
	v_mul_f32_e32 v60, v132, v161
	v_mul_f32_e32 v12, v79, v159
	s_wait_loadcnt 0x2
	v_dual_mul_f32 v74, v133, v81 :: v_dual_fmac_f32 v9, v132, v160
	s_wait_loadcnt_dscnt 0x100
	v_mul_f32_e32 v75, v10, v163
	v_fma_f32 v4, v4, v160, -v60
	v_mul_f32_e32 v60, v6, v163
	v_fma_f32 v74, v5, v80, -v74
	v_fmac_f32_e32 v59, v78, v154
	v_fma_f32 v6, v6, v162, -v75
	s_wait_loadcnt 0x0
	v_dual_mul_f32 v17, v76, v153 :: v_dual_mul_f32 v76, v11, v3
	v_dual_fmac_f32 v60, v10, v162 :: v_dual_mul_f32 v3, v7, v3
	v_sub_f32_e32 v75, v73, v26
	s_delay_alu instid0(VALU_DEP_3)
	v_fma_f32 v17, v8, v152, -v17
	v_mul_f32_e32 v8, v13, v159
	v_fma_f32 v13, v13, v158, -v12
	v_mul_f32_e32 v12, v5, v81
	v_fma_f32 v5, v7, v2, -v76
	v_dual_sub_f32 v7, v32, v24 :: v_dual_sub_f32 v10, v17, v14
	v_sub_f32_e32 v76, v74, v27
	s_delay_alu instid0(VALU_DEP_4) | instskip(SKIP_1) | instid1(VALU_DEP_4)
	v_dual_fmac_f32 v12, v133, v80 :: v_dual_and_b32 v69, 0xffff, v69
	v_fmac_f32_e32 v3, v11, v2
	v_add_f32_e32 v10, v7, v10
	s_delay_alu instid0(VALU_DEP_3)
	v_dual_add_f32 v11, v75, v76 :: v_dual_sub_f32 v78, v12, v15
	v_add_f32_e32 v7, v16, v15
	v_add_f32_e32 v76, v24, v14
	;; [unrolled: 1-line block ×3, first 2 shown]
	v_dual_add_f32 v144, v73, v74 :: v_dual_sub_f32 v77, v71, v16
	v_mul_u32_u24_e32 v2, 0x4b0, v69
	v_dual_add_f32 v69, v30, v32 :: v_dual_sub_f32 v80, v73, v74
	v_fma_f32 v76, -0.5, v76, v30
	s_delay_alu instid0(VALU_DEP_4) | instskip(SKIP_3) | instid1(VALU_DEP_3)
	v_add_f32_e32 v75, v77, v78
	v_dual_add_f32 v77, v26, v27 :: v_dual_fmac_f32 v30, -0.5, v132
	v_fma_f32 v78, -0.5, v7, v51
	v_dual_fmac_f32 v8, v79, v158 :: v_dual_add_f32 v79, v50, v73
	v_fma_f32 v7, -0.5, v77, v50
	s_delay_alu instid0(VALU_DEP_3) | instskip(SKIP_3) | instid1(VALU_DEP_4)
	v_dual_sub_f32 v77, v71, v12 :: v_dual_fmamk_f32 v134, v80, 0xbf737871, v78
	v_add_f32_e32 v69, v69, v24
	v_fmamk_f32 v139, v136, 0x3f737871, v76
	v_add_f32_e32 v79, v79, v26
	v_fmamk_f32 v137, v77, 0x3f737871, v7
	v_fmac_f32_e32 v134, 0xbf167918, v135
	v_sub_f32_e32 v132, v24, v32
	v_sub_f32_e32 v140, v61, v64
	v_add_f32_e32 v69, v69, v14
	v_fmac_f32_e32 v137, 0x3f167918, v138
	v_fmac_f32_e32 v134, 0x3e9e377a, v75
	v_add_f32_e32 v81, v79, v27
	v_dual_fmac_f32 v139, 0x3f167918, v140 :: v_dual_sub_f32 v26, v26, v73
	s_delay_alu instid0(VALU_DEP_4) | instskip(NEXT) | instid1(VALU_DEP_4)
	v_fmac_f32_e32 v137, 0x3e9e377a, v11
	v_mul_f32_e32 v141, 0x3f167918, v134
	v_sub_f32_e32 v27, v27, v74
	v_add_f32_e32 v73, v71, v12
	v_add3_u32 v79, 0, v2, v67
	v_add_f32_e32 v67, v69, v17
	v_fmac_f32_e32 v139, 0x3e9e377a, v10
	v_add_f32_e32 v69, v81, v74
	v_fmac_f32_e32 v141, 0x3f4f1bbd, v137
	v_dual_sub_f32 v133, v14, v17 :: v_dual_fmac_f32 v50, -0.5, v144
	v_add_f32_e32 v26, v26, v27
	v_add_f32_e32 v27, v51, v71
	v_fmac_f32_e32 v51, -0.5, v73
	v_add_f32_e32 v142, v67, v69
	v_add_f32_e32 v145, v139, v141
	;; [unrolled: 1-line block ×3, first 2 shown]
	v_fmamk_f32 v132, v138, 0xbf737871, v50
	v_dual_fmac_f32 v50, 0x3f737871, v138 :: v_dual_sub_f32 v71, v16, v71
	v_sub_f32_e32 v73, v15, v12
	v_fmamk_f32 v133, v135, 0x3f737871, v51
	ds_load_b32 v81, v56
	ds_load_b32 v2, v116
	global_wb scope:SCOPE_SE
	s_wait_dscnt 0x0
	s_barrier_signal -1
	s_barrier_wait -1
	global_inv scope:SCOPE_SE
	ds_store_2addr_b32 v79, v142, v145 offset1:30
	v_dual_sub_f32 v142, v57, v63 :: v_dual_fmac_f32 v7, 0xbf737871, v77
	v_fmac_f32_e32 v50, 0xbf167918, v77
	v_fmac_f32_e32 v51, 0xbf737871, v135
	v_add_f32_e32 v71, v71, v73
	v_fmac_f32_e32 v133, 0xbf167918, v80
	v_fmac_f32_e32 v78, 0x3f737871, v80
	;; [unrolled: 1-line block ×3, first 2 shown]
	v_fmamk_f32 v143, v140, 0xbf737871, v30
	v_fmac_f32_e32 v30, 0x3f737871, v140
	v_dual_fmac_f32 v132, 0x3f167918, v77 :: v_dual_fmac_f32 v51, 0x3f167918, v80
	v_dual_fmac_f32 v50, 0x3e9e377a, v26 :: v_dual_fmac_f32 v133, 0x3e9e377a, v71
	v_fmac_f32_e32 v76, 0xbf737871, v136
	v_fmac_f32_e32 v78, 0x3f167918, v135
	;; [unrolled: 1-line block ×5, first 2 shown]
	v_dual_fmac_f32 v132, 0x3e9e377a, v26 :: v_dual_fmac_f32 v51, 0x3e9e377a, v71
	v_mul_f32_e32 v11, 0x3f737871, v133
	v_mul_f32_e32 v26, 0x3e9e377a, v50
	v_fmac_f32_e32 v76, 0xbf167918, v140
	v_fmac_f32_e32 v78, 0x3e9e377a, v75
	v_mul_f32_e32 v71, 0x3f4f1bbd, v7
	v_fmac_f32_e32 v143, 0x3e9e377a, v146
	v_dual_fmac_f32 v30, 0x3e9e377a, v146 :: v_dual_fmac_f32 v11, 0x3e9e377a, v132
	v_fma_f32 v26, 0x3f737871, v51, -v26
	v_fmac_f32_e32 v76, 0x3e9e377a, v10
	v_fma_f32 v10, 0x3f167918, v78, -v71
	v_sub_f32_e32 v67, v67, v69
	v_add_f32_e32 v71, v143, v11
	v_dual_add_f32 v73, v30, v26 :: v_dual_sub_f32 v74, v139, v141
	s_delay_alu instid0(VALU_DEP_4)
	v_add_f32_e32 v69, v76, v10
	v_dual_sub_f32 v11, v143, v11 :: v_dual_sub_f32 v26, v30, v26
	v_dual_sub_f32 v10, v76, v10 :: v_dual_add_nc_u32 v135, 0x200, v79
	ds_store_2addr_b32 v79, v71, v73 offset0:60 offset1:90
	ds_store_2addr_b32 v79, v69, v67 offset0:120 offset1:150
	;; [unrolled: 1-line block ×4, first 2 shown]
	v_dual_sub_f32 v30, v48, v49 :: v_dual_and_b32 v11, 0xffff, v66
	v_sub_f32_e32 v75, v63, v57
	v_dual_sub_f32 v66, v22, v53 :: v_dual_add_f32 v69, v23, v19
	s_delay_alu instid0(VALU_DEP_3) | instskip(SKIP_1) | instid1(VALU_DEP_4)
	v_mul_u32_u24_e32 v11, 0x4b0, v11
	v_sub_f32_e32 v26, v25, v23
	v_add_f32_e32 v10, v30, v75
	v_sub_f32_e32 v30, v6, v19
	v_fma_f32 v138, -0.5, v69, v41
	v_add3_u32 v80, 0, v11, v68
	v_dual_add_f32 v68, v41, v25 :: v_dual_sub_f32 v67, v60, v59
	v_add_f32_e32 v11, v53, v59
	v_sub_f32_e32 v69, v22, v60
	v_sub_f32_e32 v73, v23, v19
	s_delay_alu instid0(VALU_DEP_4) | instskip(SKIP_2) | instid1(VALU_DEP_3)
	v_add_f32_e32 v68, v68, v23
	v_dual_add_f32 v66, v66, v67 :: v_dual_add_f32 v67, v49, v57
	v_fma_f32 v136, -0.5, v11, v42
	v_dual_sub_f32 v11, v25, v6 :: v_dual_add_f32 v68, v68, v19
	v_dual_add_f32 v77, v48, v63 :: v_dual_add_f32 v144, v25, v6
	v_add_f32_e32 v26, v26, v30
	v_add_f32_e32 v30, v29, v48
	s_delay_alu instid0(VALU_DEP_4)
	v_add_f32_e32 v68, v68, v6
	v_dual_sub_f32 v6, v19, v6 :: v_dual_add_f32 v19, v22, v60
	v_fma_f32 v67, -0.5, v67, v29
	v_fmamk_f32 v139, v11, 0xbf737871, v136
	v_dual_sub_f32 v75, v47, v55 :: v_dual_fmamk_f32 v140, v69, 0x3f737871, v138
	v_dual_sub_f32 v76, v53, v59 :: v_dual_fmac_f32 v29, -0.5, v77
	v_sub_f32_e32 v77, v49, v48
	v_dual_fmac_f32 v41, -0.5, v144 :: v_dual_add_f32 v144, v42, v22
	v_dual_fmac_f32 v42, -0.5, v19 :: v_dual_fmac_f32 v139, 0xbf167918, v73
	s_delay_alu instid0(VALU_DEP_4)
	v_dual_fmac_f32 v140, 0x3f167918, v76 :: v_dual_sub_f32 v71, v45, v62
	v_fmamk_f32 v143, v75, 0xbf737871, v29
	v_add_f32_e32 v77, v77, v142
	v_fmac_f32_e32 v29, 0x3f737871, v75
	v_dual_sub_f32 v23, v23, v25 :: v_dual_fmamk_f32 v142, v76, 0xbf737871, v41
	v_fmac_f32_e32 v41, 0x3f737871, v76
	v_dual_sub_f32 v19, v53, v22 :: v_dual_sub_f32 v22, v59, v60
	v_fmamk_f32 v146, v73, 0x3f737871, v42
	v_fmac_f32_e32 v138, 0xbf737871, v69
	v_add_f32_e32 v30, v30, v49
	v_fmamk_f32 v74, v71, 0x3f737871, v67
	v_fmac_f32_e32 v139, 0x3e9e377a, v66
	v_dual_fmac_f32 v29, 0xbf167918, v71 :: v_dual_sub_f32 v156, v24, v14
	v_dual_add_f32 v6, v23, v6 :: v_dual_fmac_f32 v41, 0xbf167918, v69
	v_dual_fmac_f32 v42, 0xbf737871, v73 :: v_dual_add_f32 v19, v19, v22
	v_fmac_f32_e32 v146, 0xbf167918, v11
	v_fmac_f32_e32 v136, 0x3f737871, v11
	;; [unrolled: 1-line block ×3, first 2 shown]
	v_add_f32_e32 v30, v30, v57
	v_fmac_f32_e32 v74, 0x3f167918, v75
	v_fmac_f32_e32 v140, 0x3e9e377a, v26
	v_dual_mul_f32 v141, 0x3f167918, v139 :: v_dual_fmac_f32 v142, 0x3f167918, v69
	v_fmac_f32_e32 v42, 0x3f167918, v11
	v_dual_fmac_f32 v41, 0x3e9e377a, v6 :: v_dual_fmac_f32 v146, 0x3e9e377a, v19
	v_dual_fmac_f32 v67, 0xbf737871, v71 :: v_dual_mul_f32 v132, 0xbf737871, v132
	v_fmac_f32_e32 v136, 0x3f167918, v73
	v_fmac_f32_e32 v138, 0x3e9e377a, v26
	v_add_f32_e32 v30, v30, v63
	v_fmac_f32_e32 v74, 0x3e9e377a, v10
	v_fmac_f32_e32 v141, 0x3f4f1bbd, v140
	v_dual_fmac_f32 v143, 0x3f167918, v71 :: v_dual_sub_f32 v154, v32, v17
	v_fmac_f32_e32 v142, 0x3e9e377a, v6
	v_fmac_f32_e32 v42, 0x3e9e377a, v19
	v_mul_f32_e32 v6, 0x3f737871, v146
	v_mul_f32_e32 v11, 0x3e9e377a, v41
	v_fmac_f32_e32 v67, 0xbf167918, v75
	v_fmac_f32_e32 v136, 0x3e9e377a, v66
	v_mul_f32_e32 v19, 0x3f4f1bbd, v138
	v_add_f32_e32 v145, v30, v68
	v_fmac_f32_e32 v143, 0x3e9e377a, v77
	v_dual_fmac_f32 v29, 0x3e9e377a, v77 :: v_dual_fmac_f32 v6, 0x3e9e377a, v142
	v_fma_f32 v11, 0x3f737871, v42, -v11
	v_sub_f32_e32 v25, v30, v68
	v_dual_sub_f32 v68, v43, v8 :: v_dual_fmac_f32 v67, 0x3e9e377a, v10
	v_fmac_f32_e32 v132, 0x3e9e377a, v133
	v_fma_f32 v10, 0x3f167918, v136, -v19
	v_dual_add_f32 v19, v74, v141 :: v_dual_mul_f32 v78, 0x3f4f1bbd, v78
	v_dual_add_f32 v22, v143, v6 :: v_dual_add_f32 v23, v29, v11
	v_sub_f32_e32 v6, v143, v6
	ds_store_2addr_b32 v80, v145, v19 offset1:30
	v_dual_sub_f32 v19, v74, v141 :: v_dual_add_f32 v26, v67, v10
	ds_store_2addr_b32 v80, v22, v23 offset0:60 offset1:90
	ds_store_2addr_b32 v80, v26, v25 offset0:120 offset1:150
	;; [unrolled: 1-line block ×3, first 2 shown]
	v_sub_f32_e32 v6, v29, v11
	v_mul_u32_u24_e32 v26, 0x4b0, v31
	v_dual_sub_f32 v22, v39, v40 :: v_dual_lshlrev_b32 v29, 2, v33
	v_sub_f32_e32 v23, v4, v46
	v_sub_f32_e32 v19, v21, v18
	;; [unrolled: 1-line block ×3, first 2 shown]
	s_delay_alu instid0(VALU_DEP_4) | instskip(NEXT) | instid1(VALU_DEP_4)
	v_add3_u32 v143, 0, v26, v29
	v_dual_add_f32 v26, v43, v8 :: v_dual_add_f32 v11, v22, v23
	v_dual_sub_f32 v22, v5, v13 :: v_dual_sub_f32 v23, v20, v43
	v_add_f32_e32 v29, v35, v21
	s_delay_alu instid0(VALU_DEP_3) | instskip(SKIP_4) | instid1(VALU_DEP_4)
	v_fma_f32 v145, -0.5, v26, v36
	v_sub_f32_e32 v26, v21, v5
	v_sub_f32_e32 v49, v49, v57
	;; [unrolled: 1-line block ×3, first 2 shown]
	v_dual_add_f32 v19, v19, v22 :: v_dual_add_f32 v22, v28, v39
	v_fmamk_f32 v148, v26, 0xbf737871, v145
	v_add_f32_e32 v30, v18, v13
	s_delay_alu instid0(VALU_DEP_4) | instskip(NEXT) | instid1(VALU_DEP_4)
	v_add_f32_e32 v23, v23, v25
	v_dual_add_f32 v29, v29, v18 :: v_dual_add_f32 v22, v22, v40
	s_delay_alu instid0(VALU_DEP_4) | instskip(NEXT) | instid1(VALU_DEP_4)
	v_dual_fmac_f32 v148, 0xbf167918, v33 :: v_dual_add_f32 v25, v40, v46
	v_fma_f32 v147, -0.5, v30, v35
	v_sub_f32_e32 v30, v20, v3
	s_delay_alu instid0(VALU_DEP_4) | instskip(NEXT) | instid1(VALU_DEP_4)
	v_dual_add_f32 v22, v22, v46 :: v_dual_add_f32 v29, v29, v13
	v_dual_fmac_f32 v148, 0x3e9e377a, v23 :: v_dual_add_f32 v69, v39, v4
	v_fma_f32 v25, -0.5, v25, v28
	s_delay_alu instid0(VALU_DEP_4) | instskip(NEXT) | instid1(VALU_DEP_4)
	v_fmamk_f32 v149, v30, 0x3f737871, v147
	v_add_f32_e32 v22, v22, v4
	s_delay_alu instid0(VALU_DEP_4)
	v_dual_mul_f32 v71, 0x3f167918, v148 :: v_dual_fmac_f32 v28, -0.5, v69
	v_add_f32_e32 v29, v29, v5
	v_sub_f32_e32 v69, v40, v39
	v_sub_f32_e32 v73, v46, v4
	v_dual_sub_f32 v4, v39, v4 :: v_dual_add_f32 v75, v21, v5
	v_dual_sub_f32 v40, v40, v46 :: v_dual_sub_f32 v5, v13, v5
	v_dual_add_f32 v13, v20, v3 :: v_dual_sub_f32 v18, v18, v21
	s_delay_alu instid0(VALU_DEP_3) | instskip(SKIP_1) | instid1(VALU_DEP_3)
	v_fmac_f32_e32 v35, -0.5, v75
	v_add_f32_e32 v151, v36, v20
	v_dual_fmac_f32 v149, 0x3f167918, v68 :: v_dual_fmac_f32 v36, -0.5, v13
	s_delay_alu instid0(VALU_DEP_3) | instskip(SKIP_2) | instid1(VALU_DEP_4)
	v_dual_add_f32 v5, v18, v5 :: v_dual_fmamk_f32 v150, v68, 0xbf737871, v35
	v_fmac_f32_e32 v35, 0x3f737871, v68
	v_dual_sub_f32 v13, v43, v20 :: v_dual_sub_f32 v18, v8, v3
	v_fmamk_f32 v152, v33, 0x3f737871, v36
	v_fmac_f32_e32 v36, 0xbf737871, v33
	v_fmac_f32_e32 v149, 0x3e9e377a, v19
	;; [unrolled: 1-line block ×3, first 2 shown]
	v_add_f32_e32 v13, v13, v18
	v_fmac_f32_e32 v152, 0xbf167918, v26
	v_fmac_f32_e32 v36, 0x3f167918, v26
	;; [unrolled: 1-line block ×3, first 2 shown]
	v_dual_sub_f32 v31, v37, v9 :: v_dual_mul_f32 v42, 0x3e9e377a, v42
	s_delay_alu instid0(VALU_DEP_4) | instskip(NEXT) | instid1(VALU_DEP_4)
	v_fmac_f32_e32 v152, 0x3e9e377a, v13
	v_fmac_f32_e32 v36, 0x3e9e377a, v13
	v_dual_fmac_f32 v35, 0x3e9e377a, v5 :: v_dual_sub_f32 v10, v67, v10
	v_sub_f32_e32 v67, v38, v44
	v_fmac_f32_e32 v145, 0x3f737871, v26
	v_fmamk_f32 v66, v31, 0x3f737871, v25
	s_delay_alu instid0(VALU_DEP_4)
	v_mul_f32_e32 v13, 0x3e9e377a, v35
	v_fmac_f32_e32 v150, 0x3f167918, v30
	v_fmamk_f32 v74, v67, 0xbf737871, v28
	v_fmac_f32_e32 v28, 0x3f737871, v67
	v_fmac_f32_e32 v25, 0xbf737871, v31
	v_fma_f32 v13, 0x3f737871, v36, -v13
	v_mul_f32_e32 v36, 0x3e9e377a, v36
	v_dual_fmac_f32 v66, 0x3f167918, v67 :: v_dual_add_f32 v69, v69, v73
	v_fmac_f32_e32 v74, 0x3f167918, v31
	v_fmac_f32_e32 v28, 0xbf167918, v31
	s_delay_alu instid0(VALU_DEP_4)
	v_fma_f32 v35, 0xbf737871, v35, -v36
	v_fmac_f32_e32 v147, 0xbf167918, v68
	v_fmac_f32_e32 v145, 0x3f167918, v33
	;; [unrolled: 1-line block ×3, first 2 shown]
	v_mul_f32_e32 v5, 0x3f737871, v152
	v_fmac_f32_e32 v25, 0xbf167918, v67
	v_fmac_f32_e32 v147, 0x3e9e377a, v19
	v_fmac_f32_e32 v145, 0x3e9e377a, v23
	v_fmac_f32_e32 v66, 0x3e9e377a, v11
	v_add_f32_e32 v43, v151, v43
	s_delay_alu instid0(VALU_DEP_4) | instskip(SKIP_3) | instid1(VALU_DEP_4)
	v_dual_fmac_f32 v71, 0x3f4f1bbd, v149 :: v_dual_mul_f32 v18, 0x3f4f1bbd, v147
	v_fmac_f32_e32 v74, 0x3e9e377a, v69
	v_dual_fmac_f32 v28, 0x3e9e377a, v69 :: v_dual_fmac_f32 v5, 0x3e9e377a, v150
	v_fmac_f32_e32 v25, 0x3e9e377a, v11
	v_fma_f32 v11, 0x3f167918, v145, -v18
	v_dual_add_f32 v76, v22, v29 :: v_dual_add_nc_u32 v141, 0x200, v80
	v_add_f32_e32 v18, v66, v71
	v_add_f32_e32 v19, v74, v5
	v_add_f32_e32 v20, v28, v13
	v_dual_sub_f32 v21, v22, v29 :: v_dual_add_f32 v22, v25, v11
	v_sub_f32_e32 v23, v66, v71
	v_sub_f32_e32 v5, v74, v5
	ds_store_2addr_b32 v141, v6, v10 offset0:112 offset1:142
	ds_store_2addr_b32 v143, v76, v18 offset1:30
	ds_store_2addr_b32 v143, v19, v20 offset0:60 offset1:90
	ds_store_2addr_b32 v143, v22, v21 offset0:120 offset1:150
	;; [unrolled: 1-line block ×3, first 2 shown]
	v_dual_sub_f32 v5, v28, v13 :: v_dual_add_f32 v10, v61, v64
	v_add_f32_e32 v13, v81, v58
	v_dual_sub_f32 v6, v25, v11 :: v_dual_add_f32 v11, v27, v16
	v_sub_f32_e32 v16, v65, v64
	s_delay_alu instid0(VALU_DEP_4)
	v_fma_f32 v155, -0.5, v10, v81
	v_sub_f32_e32 v10, v58, v61
	v_add_f32_e32 v13, v13, v61
	v_add_nc_u32_e32 v153, 0x200, v143
	v_lshl_add_u32 v30, v107, 2, 0
	v_lshl_add_u32 v31, v108, 2, 0
	v_add_f32_e32 v158, v10, v16
	v_add_f32_e32 v10, v13, v64
	ds_store_2addr_b32 v153, v5, v6 offset0:112 offset1:142
	global_wb scope:SCOPE_SE
	s_wait_dscnt 0x0
	s_barrier_signal -1
	s_barrier_wait -1
	v_add_f32_e32 v6, v10, v65
	v_add_f32_e32 v10, v58, v65
	global_inv scope:SCOPE_SE
	v_lshl_add_u32 v32, v110, 2, 0
	v_lshl_add_u32 v33, v111, 2, 0
	ds_load_b32 v77, v56
	ds_load_b32 v76, v116
	;; [unrolled: 1-line block ×10, first 2 shown]
	ds_load_2addr_b32 v[28:29], v122 offset0:132 offset1:222
	ds_load_2addr_b32 v[26:27], v119 offset0:8 offset1:98
	;; [unrolled: 1-line block ×5, first 2 shown]
	v_fmamk_f32 v157, v154, 0xbf737871, v155
	v_fmac_f32_e32 v81, -0.5, v10
	v_add_f32_e32 v11, v11, v15
	v_dual_mul_f32 v137, 0xbf167918, v137 :: v_dual_sub_f32 v58, v61, v58
	s_delay_alu instid0(VALU_DEP_4)
	v_fmac_f32_e32 v157, 0xbf167918, v156
	v_sub_f32_e32 v61, v64, v65
	v_fmamk_f32 v64, v156, 0x3f737871, v81
	v_fmac_f32_e32 v81, 0xbf737871, v156
	v_fmac_f32_e32 v155, 0x3f737871, v154
	v_add_f32_e32 v5, v11, v12
	v_fmac_f32_e32 v137, 0x3f4f1bbd, v134
	v_dual_fmac_f32 v157, 0x3e9e377a, v158 :: v_dual_add_f32 v58, v58, v61
	v_fmac_f32_e32 v64, 0xbf167918, v154
	v_fmac_f32_e32 v81, 0x3f167918, v154
	v_mul_f32_e32 v51, 0x3e9e377a, v51
	v_fmac_f32_e32 v155, 0x3f167918, v156
	v_add_f32_e32 v61, v6, v5
	v_dual_add_f32 v65, v157, v137 :: v_dual_fmac_f32 v64, 0x3e9e377a, v58
	v_fmac_f32_e32 v81, 0x3e9e377a, v58
	v_fma_f32 v50, 0xbf737871, v50, -v51
	ds_load_2addr_b32 v[20:21], v120 offset0:112 offset1:202
	ds_load_2addr_b32 v[16:17], v125 offset0:160 offset1:250
	;; [unrolled: 1-line block ×4, first 2 shown]
	v_fmac_f32_e32 v155, 0x3e9e377a, v158
	v_fma_f32 v7, 0xbf167918, v7, -v78
	ds_load_2addr_b32 v[10:11], v126 offset0:88 offset1:178
	global_wb scope:SCOPE_SE
	s_wait_dscnt 0x0
	s_barrier_signal -1
	s_barrier_wait -1
	global_inv scope:SCOPE_SE
	ds_store_2addr_b32 v79, v61, v65 offset1:30
	v_dual_add_f32 v51, v64, v132 :: v_dual_add_f32 v58, v81, v50
	v_dual_sub_f32 v61, v157, v137 :: v_dual_sub_f32 v64, v64, v132
	v_dual_sub_f32 v5, v6, v5 :: v_dual_add_f32 v6, v155, v7
	v_dual_sub_f32 v50, v81, v50 :: v_dual_sub_f32 v7, v155, v7
	ds_store_2addr_b32 v79, v51, v58 offset0:60 offset1:90
	ds_store_2addr_b32 v79, v6, v5 offset0:120 offset1:150
	;; [unrolled: 1-line block ×4, first 2 shown]
	v_sub_f32_e32 v6, v48, v63
	v_sub_f32_e32 v7, v45, v47
	;; [unrolled: 1-line block ×3, first 2 shown]
	v_dual_add_f32 v50, v47, v55 :: v_dual_add_f32 v51, v45, v62
	v_add_f32_e32 v5, v2, v45
	v_sub_f32_e32 v45, v47, v45
	s_delay_alu instid0(VALU_DEP_4) | instskip(NEXT) | instid1(VALU_DEP_4)
	v_add_f32_e32 v7, v7, v48
	v_fma_f32 v48, -0.5, v50, v2
	v_fmac_f32_e32 v2, -0.5, v51
	v_add_f32_e32 v5, v5, v47
	v_sub_f32_e32 v47, v55, v62
	s_delay_alu instid0(VALU_DEP_4) | instskip(SKIP_3) | instid1(VALU_DEP_4)
	v_dual_add_f32 v51, v144, v53 :: v_dual_fmamk_f32 v50, v6, 0xbf737871, v48
	v_fmac_f32_e32 v48, 0x3f737871, v6
	v_fmamk_f32 v53, v49, 0x3f737871, v2
	v_dual_fmac_f32 v2, 0xbf737871, v49 :: v_dual_add_f32 v5, v5, v55
	v_fmac_f32_e32 v50, 0xbf167918, v49
	s_delay_alu instid0(VALU_DEP_4) | instskip(NEXT) | instid1(VALU_DEP_4)
	v_dual_fmac_f32 v48, 0x3f167918, v49 :: v_dual_add_f32 v45, v45, v47
	v_fmac_f32_e32 v53, 0xbf167918, v6
	s_delay_alu instid0(VALU_DEP_4)
	v_fmac_f32_e32 v2, 0x3f167918, v6
	v_add_f32_e32 v6, v51, v59
	v_fmac_f32_e32 v50, 0x3e9e377a, v7
	v_fmac_f32_e32 v48, 0x3e9e377a, v7
	v_mul_f32_e32 v7, 0xbf167918, v140
	v_add_f32_e32 v5, v5, v62
	v_fmac_f32_e32 v53, 0x3e9e377a, v45
	v_fmac_f32_e32 v2, 0x3e9e377a, v45
	v_mul_f32_e32 v45, 0xbf737871, v142
	v_mul_f32_e32 v47, 0x3f4f1bbd, v136
	v_dual_add_f32 v6, v6, v60 :: v_dual_fmac_f32 v7, 0x3f4f1bbd, v139
	v_fma_f32 v41, 0xbf737871, v41, -v42
	s_delay_alu instid0(VALU_DEP_4) | instskip(NEXT) | instid1(VALU_DEP_4)
	v_fmac_f32_e32 v45, 0x3e9e377a, v146
	v_fma_f32 v42, 0xbf167918, v138, -v47
	s_delay_alu instid0(VALU_DEP_4)
	v_add_f32_e32 v47, v5, v6
	v_dual_sub_f32 v5, v5, v6 :: v_dual_add_f32 v6, v50, v7
	v_sub_f32_e32 v7, v50, v7
	v_add_f32_e32 v50, v2, v41
	v_sub_f32_e32 v2, v2, v41
	v_add_f32_e32 v41, v34, v37
	v_add_f32_e32 v49, v53, v45
	v_sub_f32_e32 v45, v53, v45
	v_add_f32_e32 v53, v38, v44
	v_add_f32_e32 v55, v37, v9
	v_add_f32_e32 v41, v41, v38
	v_add_f32_e32 v51, v48, v42
	v_sub_f32_e32 v42, v48, v42
	v_fma_f32 v46, -0.5, v53, v34
	s_delay_alu instid0(VALU_DEP_4)
	v_dual_fmac_f32 v34, -0.5, v55 :: v_dual_add_f32 v41, v41, v44
	v_sub_f32_e32 v39, v37, v38
	v_dual_sub_f32 v48, v9, v44 :: v_dual_sub_f32 v37, v38, v37
	ds_store_2addr_b32 v80, v47, v6 offset1:30
	ds_store_2addr_b32 v80, v49, v50 offset0:60 offset1:90
	ds_store_2addr_b32 v80, v51, v5 offset0:120 offset1:150
	;; [unrolled: 1-line block ×4, first 2 shown]
	v_add_f32_e32 v38, v41, v9
	v_sub_f32_e32 v9, v44, v9
	v_fmamk_f32 v44, v40, 0x3f737871, v34
	v_fmac_f32_e32 v34, 0xbf737871, v40
	v_fmamk_f32 v41, v4, 0xbf737871, v46
	v_fmac_f32_e32 v46, 0x3f737871, v4
	v_add_f32_e32 v39, v39, v48
	v_fmac_f32_e32 v44, 0xbf167918, v4
	v_fmac_f32_e32 v34, 0x3f167918, v4
	v_add_f32_e32 v4, v43, v8
	v_fmac_f32_e32 v41, 0xbf167918, v40
	v_dual_fmac_f32 v46, 0x3f167918, v40 :: v_dual_add_f32 v9, v37, v9
	s_delay_alu instid0(VALU_DEP_3) | instskip(SKIP_1) | instid1(VALU_DEP_4)
	v_dual_mul_f32 v8, 0xbf167918, v149 :: v_dual_add_f32 v3, v4, v3
	v_mul_f32_e32 v4, 0x3f4f1bbd, v145
	v_fmac_f32_e32 v41, 0x3e9e377a, v39
	s_delay_alu instid0(VALU_DEP_4)
	v_fmac_f32_e32 v46, 0x3e9e377a, v39
	v_fmac_f32_e32 v44, 0x3e9e377a, v9
	;; [unrolled: 1-line block ×3, first 2 shown]
	v_mul_f32_e32 v9, 0xbf737871, v150
	v_fmac_f32_e32 v8, 0x3f4f1bbd, v148
	v_add_f32_e32 v36, v38, v3
	v_fma_f32 v4, 0xbf167918, v147, -v4
	v_sub_f32_e32 v38, v38, v3
	v_dual_mov_b32 v3, 0 :: v_dual_lshlrev_b32 v2, 1, v101
	v_fmac_f32_e32 v9, 0x3e9e377a, v152
	v_add_f32_e32 v37, v41, v8
	v_sub_f32_e32 v8, v41, v8
	v_add_f32_e32 v40, v34, v35
	v_add_f32_e32 v41, v46, v4
	v_sub_f32_e32 v34, v34, v35
	v_sub_f32_e32 v35, v46, v4
	v_lshlrev_b64_e32 v[4:5], 3, v[2:3]
	v_add_f32_e32 v39, v44, v9
	v_sub_f32_e32 v9, v44, v9
	ds_store_2addr_b32 v143, v36, v37 offset1:30
	ds_store_2addr_b32 v143, v39, v40 offset0:60 offset1:90
	ds_store_2addr_b32 v143, v41, v38 offset0:120 offset1:150
	;; [unrolled: 1-line block ×3, first 2 shown]
	v_add_co_u32 v4, s0, s4, v4
	s_wait_alu 0xf1ff
	v_add_co_ci_u32_e64 v5, s0, s5, v5, s0
	ds_store_2addr_b32 v153, v34, v35 offset0:112 offset1:142
	v_subrev_nc_u32_e32 v34, 30, v101
	v_cmp_gt_u32_e64 s0, 30, v101
	v_dual_mov_b32 v7, v3 :: v_dual_lshlrev_b32 v6, 1, v131
	v_dual_mov_b32 v9, v3 :: v_dual_lshlrev_b32 v8, 1, v130
	s_wait_alu 0xf1ff
	s_delay_alu instid0(VALU_DEP_3)
	v_cndmask_b32_e64 v35, v34, v106, s0
	v_lshrrev_b16 v34, 2, v109
	v_lshlrev_b64_e32 v[6:7], 3, v[6:7]
	v_mov_b32_e32 v41, v3
	v_lshlrev_b64_e32 v[8:9], 3, v[8:9]
	v_lshlrev_b32_e32 v40, 1, v35
	v_and_b32_e32 v34, 0xffff, v34
	v_dual_mov_b32 v49, v3 :: v_dual_add_nc_u32 v48, 0x78, v2
	v_add_co_u32 v6, s0, s4, v6
	s_delay_alu instid0(VALU_DEP_4) | instskip(NEXT) | instid1(VALU_DEP_4)
	v_lshlrev_b64_e32 v[50:51], 3, v[40:41]
	v_mul_u32_u24_e32 v34, 0x6d3b, v34
	v_lshrrev_b16 v53, 2, v110
	s_wait_alu 0xf1ff
	v_add_co_ci_u32_e64 v7, s0, s5, v7, s0
	v_add_co_u32 v8, s0, s4, v8
	v_lshlrev_b64_e32 v[48:49], 3, v[48:49]
	s_wait_alu 0xf1ff
	v_add_co_ci_u32_e64 v9, s0, s5, v9, s0
	global_wb scope:SCOPE_SE
	s_wait_dscnt 0x0
	s_barrier_signal -1
	s_barrier_wait -1
	global_inv scope:SCOPE_SE
	global_load_b128 v[36:39], v[4:5], off offset:2376
	v_add_co_u32 v50, s0, s4, v50
	v_lshrrev_b32_e32 v34, 21, v34
	v_and_b32_e32 v53, 0xffff, v53
	s_wait_alu 0xf1ff
	v_add_co_ci_u32_e64 v51, s0, s5, v51, s0
	v_add_co_u32 v57, s0, s4, v48
	s_wait_alu 0xf1ff
	v_add_co_ci_u32_e64 v58, s0, s5, v49, s0
	v_mul_lo_u16 v55, 0x12c, v34
	v_mul_u32_u24_e32 v53, 0x6d3b, v53
	s_clause 0x3
	global_load_b128 v[40:43], v[6:7], off offset:2376
	global_load_b128 v[44:47], v[8:9], off offset:2376
	global_load_b128 v[48:51], v[50:51], off offset:2376
	global_load_b128 v[58:61], v[57:58], off offset:2376
	v_sub_nc_u16 v55, v109, v55
	v_lshrrev_b16 v57, 2, v112
	v_lshrrev_b32_e32 v53, 21, v53
	v_add_nc_u32_e32 v2, 0x12c, v2
	s_delay_alu instid0(VALU_DEP_4) | instskip(NEXT) | instid1(VALU_DEP_4)
	v_and_b32_e32 v150, 0xffff, v55
	v_and_b32_e32 v55, 0xffff, v57
	s_delay_alu instid0(VALU_DEP_4) | instskip(NEXT) | instid1(VALU_DEP_4)
	v_mul_lo_u16 v53, 0x12c, v53
	v_lshlrev_b64_e32 v[62:63], 3, v[2:3]
	v_lshrrev_b16 v2, 2, v111
	v_lshlrev_b32_e32 v57, 4, v150
	v_mul_u32_u24_e32 v55, 0x6d3b, v55
	v_sub_nc_u16 v53, v110, v53
	s_delay_alu instid0(VALU_DEP_4) | instskip(SKIP_1) | instid1(VALU_DEP_4)
	v_and_b32_e32 v2, 0xffff, v2
	v_add_co_u32 v62, s0, s4, v62
	v_lshrrev_b32_e32 v55, 21, v55
	s_delay_alu instid0(VALU_DEP_4) | instskip(NEXT) | instid1(VALU_DEP_4)
	v_and_b32_e32 v151, 0xffff, v53
	v_mul_u32_u24_e32 v2, 0x6d3b, v2
	s_wait_alu 0xf1ff
	v_add_co_ci_u32_e64 v63, s0, s5, v63, s0
	v_mul_lo_u16 v53, 0x12c, v55
	v_lshlrev_b32_e32 v55, 4, v151
	v_lshrrev_b32_e32 v2, 21, v2
	s_clause 0x1
	global_load_b128 v[62:65], v[62:63], off offset:2376
	global_load_b128 v[78:81], v57, s[4:5] offset:2376
	v_sub_nc_u16 v53, v112, v53
	global_load_b128 v[130:133], v55, s[4:5] offset:2376
	v_mul_lo_u16 v2, 0x12c, v2
	v_cmp_lt_u32_e64 s0, 29, v101
	v_and_b32_e32 v153, 0xffff, v53
	s_delay_alu instid0(VALU_DEP_3) | instskip(NEXT) | instid1(VALU_DEP_2)
	v_sub_nc_u16 v2, v111, v2
	v_lshlrev_b32_e32 v53, 4, v153
	s_delay_alu instid0(VALU_DEP_2) | instskip(NEXT) | instid1(VALU_DEP_1)
	v_and_b32_e32 v152, 0xffff, v2
	v_lshlrev_b32_e32 v2, 4, v152
	s_clause 0x1
	global_load_b128 v[134:137], v2, s[4:5] offset:2376
	global_load_b128 v[138:141], v53, s[4:5] offset:2376
	ds_load_2addr_b32 v[142:143], v122 offset0:132 offset1:222
	ds_load_2addr_b32 v[144:145], v119 offset0:8 offset1:98
	;; [unrolled: 1-line block ×4, first 2 shown]
	s_wait_loadcnt_dscnt 0x903
	v_mul_f32_e32 v2, v142, v37
	v_mul_f32_e32 v154, v28, v37
	s_wait_dscnt 0x2
	v_mul_f32_e32 v37, v144, v39
	v_mul_f32_e32 v39, v26, v39
	v_fma_f32 v155, v28, v36, -v2
	v_fmac_f32_e32 v154, v142, v36
	s_delay_alu instid0(VALU_DEP_4)
	v_fma_f32 v142, v26, v38, -v37
	s_wait_loadcnt 0x8
	v_dual_fmac_f32 v39, v144, v38 :: v_dual_mul_f32 v2, v143, v41
	v_mul_f32_e32 v38, v29, v41
	v_mul_f32_e32 v26, v145, v43
	;; [unrolled: 1-line block ×3, first 2 shown]
	s_wait_loadcnt_dscnt 0x700
	v_mul_f32_e32 v36, v148, v47
	v_fma_f32 v41, v29, v40, -v2
	ds_load_2addr_b32 v[28:29], v117 offset0:108 offset1:198
	v_fmac_f32_e32 v38, v143, v40
	v_fma_f32 v40, v27, v42, -v26
	ds_load_2addr_b32 v[26:27], v120 offset0:112 offset1:202
	v_dual_mul_f32 v2, v146, v45 :: v_dual_fmac_f32 v43, v145, v42
	v_fma_f32 v145, v22, v46, -v36
	ds_load_2addr_b32 v[36:37], v121 offset0:36 offset1:126
	v_dual_mul_f32 v42, v24, v45 :: v_dual_mul_f32 v143, v22, v47
	v_fma_f32 v144, v24, v44, -v2
	s_wait_loadcnt 0x5
	v_dual_mul_f32 v2, v147, v49 :: v_dual_mul_f32 v55, v18, v59
	s_delay_alu instid0(VALU_DEP_3) | instskip(SKIP_4) | instid1(VALU_DEP_3)
	v_dual_mul_f32 v45, v20, v61 :: v_dual_fmac_f32 v42, v146, v44
	v_mul_f32_e32 v146, v25, v49
	v_mul_f32_e32 v156, v23, v51
	s_wait_dscnt 0x2
	v_mul_f32_e32 v22, v28, v59
	v_dual_fmac_f32 v55, v28, v58 :: v_dual_fmac_f32 v146, v147, v48
	s_wait_dscnt 0x1
	v_fmac_f32_e32 v45, v26, v60
	v_fmac_f32_e32 v143, v148, v46
	v_fma_f32 v148, v25, v48, -v2
	v_mul_f32_e32 v2, v149, v51
	ds_load_2addr_b32 v[24:25], v125 offset0:160 offset1:250
	v_fmac_f32_e32 v156, v149, v50
	v_fma_f32 v53, v18, v58, -v22
	s_wait_loadcnt 0x4
	v_mul_f32_e32 v18, v29, v63
	v_fma_f32 v147, v23, v50, -v2
	v_mul_f32_e32 v2, v26, v61
	s_wait_loadcnt 0x2
	v_mul_f32_e32 v50, v15, v133
	ds_load_2addr_b32 v[22:23], v126 offset0:88 offset1:178
	s_wait_dscnt 0x2
	v_mul_f32_e32 v26, v36, v81
	v_mul_f32_e32 v46, v16, v79
	v_fma_f32 v61, v20, v60, -v2
	v_fma_f32 v60, v19, v62, -v18
	v_dual_fmac_f32 v50, v37, v132 :: v_dual_mul_f32 v59, v19, v63
	ds_load_2addr_b32 v[18:19], v118 offset0:84 offset1:174
	v_mul_f32_e32 v2, v27, v65
	v_fma_f32 v58, v14, v80, -v26
	v_fmac_f32_e32 v59, v29, v62
	v_mul_f32_e32 v62, v21, v65
	s_delay_alu instid0(VALU_DEP_4)
	v_fma_f32 v63, v21, v64, -v2
	s_wait_dscnt 0x2
	v_mul_f32_e32 v2, v25, v131
	s_wait_loadcnt 0x1
	v_mul_f32_e32 v44, v12, v135
	v_mul_f32_e32 v20, v24, v79
	v_fmac_f32_e32 v46, v24, v78
	v_fmac_f32_e32 v62, v27, v64
	v_fma_f32 v65, v17, v130, -v2
	v_mul_f32_e32 v2, v10, v137
	v_fma_f32 v49, v16, v78, -v20
	v_mul_f32_e32 v64, v17, v131
	s_wait_loadcnt 0x0
	v_mul_f32_e32 v79, v13, v139
	v_add_f32_e32 v17, v74, v148
	s_wait_dscnt 0x1
	v_fmac_f32_e32 v2, v22, v136
	s_wait_dscnt 0x0
	v_fmac_f32_e32 v44, v18, v134
	v_mul_f32_e32 v47, v14, v81
	v_mul_f32_e32 v14, v37, v133
	;; [unrolled: 1-line block ×3, first 2 shown]
	v_fmac_f32_e32 v64, v25, v130
	s_delay_alu instid0(VALU_DEP_3) | instskip(SKIP_4) | instid1(VALU_DEP_4)
	v_fma_f32 v78, v15, v132, -v14
	v_mul_f32_e32 v15, v22, v137
	v_mul_f32_e32 v14, v18, v135
	v_fma_f32 v51, v13, v138, -v16
	v_add_f32_e32 v16, v75, v144
	v_fma_f32 v57, v10, v136, -v15
	v_add_f32_e32 v10, v155, v142
	v_fma_f32 v48, v12, v134, -v14
	v_mul_f32_e32 v12, v23, v141
	v_fmac_f32_e32 v79, v19, v138
	ds_load_b32 v130, v56
	ds_load_b32 v131, v116
	;; [unrolled: 1-line block ×10, first 2 shown]
	v_fmac_f32_e32 v47, v36, v80
	v_add_f32_e32 v13, v77, v155
	v_dual_fmac_f32 v77, -0.5, v10 :: v_dual_sub_f32 v10, v154, v39
	v_mul_f32_e32 v80, v11, v141
	v_fma_f32 v81, v11, v140, -v12
	v_dual_add_f32 v11, v41, v40 :: v_dual_add_f32 v14, v144, v145
	s_delay_alu instid0(VALU_DEP_4) | instskip(SKIP_2) | instid1(VALU_DEP_4)
	v_fmamk_f32 v12, v10, 0x3f5db3d7, v77
	v_dual_fmac_f32 v77, 0xbf5db3d7, v10 :: v_dual_add_f32 v10, v76, v41
	v_add_f32_e32 v15, v148, v147
	v_fmac_f32_e32 v76, -0.5, v11
	v_sub_f32_e32 v11, v38, v43
	v_dual_fmac_f32 v75, -0.5, v14 :: v_dual_sub_f32 v14, v42, v143
	s_delay_alu instid0(VALU_DEP_4) | instskip(SKIP_1) | instid1(VALU_DEP_4)
	v_dual_fmac_f32 v74, -0.5, v15 :: v_dual_sub_f32 v15, v146, v156
	v_dual_add_f32 v13, v13, v142 :: v_dual_add_f32 v10, v10, v40
	v_fmamk_f32 v18, v11, 0x3f5db3d7, v76
	v_fmac_f32_e32 v76, 0xbf5db3d7, v11
	v_dual_fmac_f32 v80, v23, v140 :: v_dual_fmamk_f32 v11, v14, 0x3f5db3d7, v75
	v_fmac_f32_e32 v75, 0xbf5db3d7, v14
	v_fmamk_f32 v14, v15, 0x3f5db3d7, v74
	v_fmac_f32_e32 v74, 0xbf5db3d7, v15
	global_wb scope:SCOPE_SE
	s_wait_dscnt 0x0
	s_barrier_signal -1
	s_barrier_wait -1
	global_inv scope:SCOPE_SE
	v_lshlrev_b32_e32 v15, 2, v35
	s_wait_alu 0xf1ff
	v_cndmask_b32_e64 v19, 0, 0xe10, s0
	ds_store_b32 v56, v13
	ds_store_b32 v56, v12 offset:1200
	ds_store_b32 v56, v77 offset:2400
	v_add_f32_e32 v12, v16, v145
	ds_store_b32 v116, v10
	ds_store_b32 v116, v18 offset:1200
	ds_store_b32 v116, v76 offset:2400
	v_add_f32_e32 v10, v53, v61
	v_add3_u32 v77, 0, v19, v15
	v_add_f32_e32 v15, v60, v63
	ds_store_b32 v123, v12
	ds_store_b32 v123, v11 offset:1200
	ds_store_b32 v123, v75 offset:2400
	v_dual_add_f32 v11, v71, v53 :: v_dual_add_f32 v12, v73, v60
	v_dual_fmac_f32 v71, -0.5, v10 :: v_dual_sub_f32 v60, v60, v63
	v_dual_sub_f32 v10, v55, v45 :: v_dual_add_f32 v13, v17, v147
	v_fmac_f32_e32 v73, -0.5, v15
	v_sub_f32_e32 v15, v59, v62
	s_delay_alu instid0(VALU_DEP_3) | instskip(SKIP_2) | instid1(VALU_DEP_4)
	v_dual_add_f32 v11, v11, v61 :: v_dual_fmamk_f32 v16, v10, 0x3f5db3d7, v71
	v_dual_fmac_f32 v71, 0xbf5db3d7, v10 :: v_dual_add_f32 v10, v154, v39
	v_dual_add_f32 v12, v12, v63 :: v_dual_add_nc_u32 v75, 0xe00, v56
	v_fmamk_f32 v17, v15, 0x3f5db3d7, v73
	ds_store_b32 v77, v13
	ds_store_b32 v77, v14 offset:1200
	ds_store_b32 v77, v74 offset:2400
	ds_store_2addr_b32 v75, v11, v12 offset0:64 offset1:154
	v_add_f32_e32 v12, v130, v154
	v_fmac_f32_e32 v130, -0.5, v10
	v_dual_sub_f32 v10, v155, v142 :: v_dual_fmac_f32 v73, 0xbf5db3d7, v15
	ds_store_2addr_b32 v117, v16, v17 offset0:108 offset1:198
	ds_store_2addr_b32 v118, v71, v73 offset0:24 offset1:114
	v_add_f32_e32 v11, v38, v43
	v_fmamk_f32 v73, v10, 0xbf5db3d7, v130
	v_fmac_f32_e32 v130, 0x3f5db3d7, v10
	v_dual_add_f32 v10, v42, v143 :: v_dual_add_f32 v13, v131, v38
	s_delay_alu instid0(VALU_DEP_4)
	v_fmac_f32_e32 v131, -0.5, v11
	v_sub_f32_e32 v11, v41, v40
	v_add_f32_e32 v71, v12, v39
	v_add_f32_e32 v12, v132, v42
	v_fmac_f32_e32 v132, -0.5, v10
	v_sub_f32_e32 v10, v144, v145
	v_add_f32_e32 v74, v13, v43
	v_fmamk_f32 v76, v11, 0xbf5db3d7, v131
	v_fmac_f32_e32 v131, 0x3f5db3d7, v11
	v_add_f32_e32 v11, v146, v156
	v_dual_add_f32 v13, v137, v146 :: v_dual_add_f32 v140, v12, v143
	v_fmamk_f32 v141, v10, 0xbf5db3d7, v132
	v_fmac_f32_e32 v132, 0x3f5db3d7, v10
	v_add_f32_e32 v10, v49, v58
	v_dual_add_f32 v12, v65, v78 :: v_dual_fmac_f32 v137, -0.5, v11
	v_dual_sub_f32 v11, v148, v147 :: v_dual_add_f32 v142, v13, v156
	v_add_f32_e32 v13, v69, v49
	s_delay_alu instid0(VALU_DEP_4) | instskip(NEXT) | instid1(VALU_DEP_4)
	v_dual_fmac_f32 v69, -0.5, v10 :: v_dual_sub_f32 v10, v46, v47
	v_dual_add_f32 v14, v67, v65 :: v_dual_fmac_f32 v67, -0.5, v12
	v_sub_f32_e32 v12, v64, v50
	v_add_f32_e32 v15, v48, v57
	v_mul_u32_u24_e32 v18, 0xe10, v34
	v_lshlrev_b32_e32 v19, 2, v150
	v_fmamk_f32 v143, v11, 0xbf5db3d7, v137
	v_fmac_f32_e32 v137, 0x3f5db3d7, v11
	v_fmamk_f32 v11, v10, 0x3f5db3d7, v69
	v_fmac_f32_e32 v69, 0xbf5db3d7, v10
	;; [unrolled: 2-line block ×3, first 2 shown]
	v_add_f32_e32 v12, v66, v48
	v_dual_fmac_f32 v66, -0.5, v15 :: v_dual_add_f32 v15, v51, v81
	v_add3_u32 v144, 0, v18, v19
	v_add_f32_e32 v13, v13, v58
	v_sub_f32_e32 v16, v44, v2
	v_add_f32_e32 v17, v68, v51
	v_fmac_f32_e32 v68, -0.5, v15
	v_dual_sub_f32 v48, v48, v57 :: v_dual_sub_f32 v15, v79, v80
	v_add_f32_e32 v14, v14, v78
	v_lshl_add_u32 v145, v151, 2, 0
	ds_store_b32 v144, v13
	ds_store_b32 v144, v11 offset:1200
	ds_store_b32 v144, v69 offset:2400
	v_add_f32_e32 v11, v12, v57
	v_lshl_add_u32 v69, v152, 2, 0
	v_fmamk_f32 v20, v16, 0x3f5db3d7, v66
	v_fmac_f32_e32 v66, 0xbf5db3d7, v16
	v_fmamk_f32 v16, v15, 0x3f5db3d7, v68
	v_add_f32_e32 v12, v17, v81
	v_fmac_f32_e32 v68, 0xbf5db3d7, v15
	v_lshl_add_u32 v146, v153, 2, 0
	ds_store_b32 v145, v14 offset:7200
	ds_store_b32 v145, v10 offset:8400
	;; [unrolled: 1-line block ×9, first 2 shown]
	global_wb scope:SCOPE_SE
	s_wait_dscnt 0x0
	s_barrier_signal -1
	s_barrier_wait -1
	global_inv scope:SCOPE_SE
	ds_load_b32 v37, v129
	ds_load_b32 v41, v128
	;; [unrolled: 1-line block ×10, first 2 shown]
	ds_load_2addr_b32 v[26:27], v122 offset0:132 offset1:222
	ds_load_2addr_b32 v[28:29], v119 offset0:8 offset1:98
	;; [unrolled: 1-line block ×10, first 2 shown]
	v_dual_add_f32 v66, v55, v45 :: v_dual_sub_f32 v49, v49, v58
	v_add_f32_e32 v58, v135, v64
	v_add_f32_e32 v67, v59, v62
	v_add_f32_e32 v55, v133, v55
	s_delay_alu instid0(VALU_DEP_4) | instskip(SKIP_2) | instid1(VALU_DEP_4)
	v_fmac_f32_e32 v133, -0.5, v66
	v_sub_f32_e32 v53, v53, v61
	v_add_f32_e32 v59, v134, v59
	v_dual_fmac_f32 v134, -0.5, v67 :: v_dual_add_f32 v45, v55, v45
	v_sub_f32_e32 v51, v51, v81
	s_delay_alu instid0(VALU_DEP_4)
	v_fmamk_f32 v55, v53, 0xbf5db3d7, v133
	v_fmac_f32_e32 v133, 0x3f5db3d7, v53
	v_add_f32_e32 v53, v59, v62
	v_add_f32_e32 v59, v46, v47
	v_fmamk_f32 v61, v60, 0xbf5db3d7, v134
	v_fmac_f32_e32 v134, 0x3f5db3d7, v60
	v_add_f32_e32 v60, v64, v50
	v_add_f32_e32 v46, v138, v46
	v_dual_fmac_f32 v138, -0.5, v59 :: v_dual_sub_f32 v59, v65, v78
	global_wb scope:SCOPE_SE
	s_wait_dscnt 0x0
	v_dual_fmac_f32 v135, -0.5, v60 :: v_dual_add_f32 v46, v46, v47
	v_fmamk_f32 v47, v49, 0xbf5db3d7, v138
	v_dual_fmac_f32 v138, 0x3f5db3d7, v49 :: v_dual_add_f32 v49, v58, v50
	v_add_f32_e32 v50, v44, v2
	s_delay_alu instid0(VALU_DEP_4)
	v_fmamk_f32 v58, v59, 0xbf5db3d7, v135
	v_fmac_f32_e32 v135, 0x3f5db3d7, v59
	v_add_f32_e32 v59, v79, v80
	v_add_f32_e32 v44, v136, v44
	v_fmac_f32_e32 v136, -0.5, v50
	v_add_f32_e32 v50, v139, v79
	s_barrier_signal -1
	v_fmac_f32_e32 v139, -0.5, v59
	s_barrier_wait -1
	global_inv scope:SCOPE_SE
	ds_store_b32 v56, v71
	ds_store_b32 v56, v73 offset:1200
	ds_store_b32 v56, v130 offset:2400
	ds_store_b32 v116, v74
	ds_store_b32 v116, v76 offset:1200
	ds_store_b32 v116, v131 offset:2400
	;; [unrolled: 3-line block ×4, first 2 shown]
	v_add_f32_e32 v2, v44, v2
	v_fmamk_f32 v44, v48, 0xbf5db3d7, v136
	v_fmac_f32_e32 v136, 0x3f5db3d7, v48
	v_add_f32_e32 v48, v50, v80
	v_fmamk_f32 v50, v51, 0xbf5db3d7, v139
	v_fmac_f32_e32 v139, 0x3f5db3d7, v51
	ds_store_2addr_b32 v75, v45, v53 offset0:64 offset1:154
	ds_store_2addr_b32 v117, v55, v61 offset0:108 offset1:198
	;; [unrolled: 1-line block ×3, first 2 shown]
	ds_store_b32 v144, v46
	ds_store_b32 v144, v47 offset:1200
	ds_store_b32 v144, v138 offset:2400
	;; [unrolled: 1-line block ×11, first 2 shown]
	global_wb scope:SCOPE_SE
	s_wait_dscnt 0x0
	s_barrier_signal -1
	s_barrier_wait -1
	global_inv scope:SCOPE_SE
	s_and_saveexec_b32 s0, vcc_lo
	s_cbranch_execz .LBB0_15
; %bb.14:
	v_lshlrev_b32_e32 v2, 1, v112
	s_clause 0x1
	global_load_b128 v[44:47], v[6:7], off offset:7176
	global_load_b128 v[4:7], v[4:5], off offset:7176
	v_mad_co_u64_u32 v[137:138], null, s8, v99, 0
	v_sub_nc_u32_e32 v69, 0, v113
	v_lshlrev_b64_e32 v[48:49], 3, v[2:3]
	v_lshlrev_b32_e32 v2, 1, v111
	v_mad_co_u64_u32 v[141:142], null, s8, v98, 0
	s_delay_alu instid0(VALU_DEP_4) | instskip(NEXT) | instid1(VALU_DEP_4)
	v_dual_mov_b32 v69, v138 :: v_dual_add_nc_u32 v144, v52, v69
	v_add_co_u32 v48, vcc_lo, s4, v48
	s_wait_alu 0xfffd
	v_add_co_ci_u32_e32 v49, vcc_lo, s5, v49, vcc_lo
	v_sub_nc_u32_e32 v81, 0, v72
	v_sub_nc_u32_e32 v53, 0, v114
	v_mad_co_u64_u32 v[139:140], null, s8, v97, 0
	s_clause 0x1
	global_load_b128 v[48:51], v[48:49], off offset:7176
	global_load_b128 v[57:60], v[8:9], off offset:7176
	v_lshlrev_b64_e32 v[8:9], 3, v[2:3]
	v_lshlrev_b32_e32 v2, 1, v110
	v_add_nc_u32_e32 v143, v54, v81
	v_mov_b32_e32 v81, v142
	v_mad_co_u64_u32 v[135:136], null, s8, v103, 0
	v_add_co_u32 v8, vcc_lo, s4, v8
	s_wait_alu 0xfffd
	v_add_co_ci_u32_e32 v9, vcc_lo, s5, v9, vcc_lo
	global_load_b128 v[61:64], v[8:9], off offset:7176
	v_lshlrev_b64_e32 v[8:9], 3, v[2:3]
	v_lshlrev_b32_e32 v2, 1, v109
	s_delay_alu instid0(VALU_DEP_2) | instskip(SKIP_1) | instid1(VALU_DEP_3)
	v_add_co_u32 v8, vcc_lo, s4, v8
	s_wait_alu 0xfffd
	v_add_co_ci_u32_e32 v9, vcc_lo, s5, v9, vcc_lo
	global_load_b128 v[65:68], v[8:9], off offset:7176
	v_lshlrev_b64_e32 v[8:9], 3, v[2:3]
	v_lshlrev_b32_e32 v2, 1, v108
	s_delay_alu instid0(VALU_DEP_2) | instskip(SKIP_1) | instid1(VALU_DEP_3)
	;; [unrolled: 7-line block ×3, first 2 shown]
	v_add_co_u32 v8, vcc_lo, s4, v8
	s_wait_alu 0xfffd
	v_add_co_ci_u32_e32 v9, vcc_lo, s5, v9, vcc_lo
	global_load_b128 v[77:80], v[8:9], off offset:7176
	v_lshlrev_b64_e32 v[8:9], 3, v[2:3]
	v_lshlrev_b32_e32 v2, 1, v106
	s_delay_alu instid0(VALU_DEP_1) | instskip(NEXT) | instid1(VALU_DEP_3)
	v_lshlrev_b64_e32 v[2:3], 3, v[2:3]
	v_add_co_u32 v8, vcc_lo, s4, v8
	s_wait_alu 0xfffd
	s_delay_alu instid0(VALU_DEP_4) | instskip(NEXT) | instid1(VALU_DEP_3)
	v_add_co_ci_u32_e32 v9, vcc_lo, s5, v9, vcc_lo
	v_add_co_u32 v2, vcc_lo, s4, v2
	global_load_b128 v[107:110], v[8:9], off offset:7176
	s_wait_alu 0xfffd
	v_add_co_ci_u32_e32 v3, vcc_lo, s5, v3, vcc_lo
	global_load_b128 v[127:130], v[2:3], off offset:7176
	ds_load_2addr_b32 v[2:3], v118 offset0:84 offset1:174
	ds_load_2addr_b32 v[8:9], v126 offset0:88 offset1:178
	;; [unrolled: 1-line block ×10, first 2 shown]
	ds_load_b32 v106, v33
	ds_load_b32 v119, v32
	ds_load_b32 v126, v31
	ds_load_b32 v145, v30
	ds_load_b32 v146, v123
	ds_load_b32 v147, v116
	ds_load_b32 v148, v56
	v_mad_co_u64_u32 v[55:56], null, s8, v105, 0
	v_mad_co_u64_u32 v[115:116], null, s8, v100, 0
	;; [unrolled: 1-line block ×3, first 2 shown]
	v_add_co_u32 v30, vcc_lo, s10, v0
	v_mad_co_u64_u32 v[32:33], null, s8, v101, 0
	s_wait_alu 0xfffd
	v_add_co_ci_u32_e32 v31, vcc_lo, s11, v1, vcc_lo
	v_mad_co_u64_u32 v[0:1], null, s8, v104, 0
	v_dual_mov_b32 v54, v123 :: v_dual_add_nc_u32 v149, v70, v53
	v_dual_mov_b32 v52, v56 :: v_dual_mov_b32 v53, v116
	v_mov_b32_e32 v70, v140
	ds_load_b32 v140, v143
	ds_load_b32 v150, v144
	v_mad_co_u64_u32 v[142:143], null, s9, v101, v[33:34]
	s_wait_dscnt 0x12
	v_mad_co_u64_u32 v[143:144], null, s9, v104, v[1:2]
	v_mad_co_u64_u32 v[104:105], null, s9, v105, v[52:53]
	;; [unrolled: 1-line block ×3, first 2 shown]
	v_mov_b32_e32 v56, v136
	v_mad_co_u64_u32 v[53:54], null, s9, v102, v[54:55]
	v_mov_b32_e32 v33, v142
	s_delay_alu instid0(VALU_DEP_4) | instskip(NEXT) | instid1(VALU_DEP_2)
	v_dual_mov_b32 v1, v143 :: v_dual_mov_b32 v116, v52
	v_lshlrev_b64_e32 v[32:33], 3, v[32:33]
	s_delay_alu instid0(VALU_DEP_4) | instskip(NEXT) | instid1(VALU_DEP_3)
	v_mov_b32_e32 v123, v53
	v_lshlrev_b64_e32 v[0:1], 3, v[0:1]
	s_delay_alu instid0(VALU_DEP_3) | instskip(SKIP_1) | instid1(VALU_DEP_4)
	v_add_co_u32 v32, vcc_lo, v30, v32
	s_wait_alu 0xfffd
	v_add_co_ci_u32_e32 v33, vcc_lo, v31, v33, vcc_lo
	s_delay_alu instid0(VALU_DEP_3)
	v_add_co_u32 v0, vcc_lo, v30, v0
	s_wait_alu 0xfffd
	v_add_co_ci_u32_e32 v1, vcc_lo, v31, v1, vcc_lo
	s_wait_loadcnt_dscnt 0x909
	v_mul_f32_e32 v105, v47, v134
	s_wait_loadcnt 0x6
	v_mad_co_u64_u32 v[100:101], null, s9, v103, v[56:57]
	v_mov_b32_e32 v56, v104
	s_delay_alu instid0(VALU_DEP_1)
	v_lshlrev_b64_e32 v[52:53], 3, v[55:56]
	v_lshlrev_b64_e32 v[54:55], 3, v[115:116]
	v_dual_mul_f32 v115, v44, v132 :: v_dual_mul_f32 v116, v46, v134
	v_fma_f32 v46, v29, v46, -v105
	v_mul_f32_e32 v56, v45, v132
	v_add_co_u32 v52, vcc_lo, v30, v52
	s_delay_alu instid0(VALU_DEP_4)
	v_fmac_f32_e32 v115, v27, v45
	v_mad_co_u64_u32 v[101:102], null, s9, v99, v[69:70]
	v_fmac_f32_e32 v116, v29, v47
	v_mov_b32_e32 v136, v100
	v_lshlrev_b64_e32 v[99:100], 3, v[122:123]
	v_mul_f32_e32 v123, v7, v133
	v_mul_f32_e32 v132, v6, v133
	v_fma_f32 v44, v27, v44, -v56
	v_mov_b32_e32 v138, v101
	v_sub_f32_e32 v56, v115, v116
	v_fma_f32 v45, v28, v6, -v123
	v_mul_f32_e32 v122, v5, v131
	v_mul_f32_e32 v131, v4, v131
	v_fmac_f32_e32 v132, v28, v7
	v_sub_f32_e32 v47, v44, v46
	v_add_f32_e32 v27, v43, v44
	v_fma_f32 v4, v26, v4, -v122
	v_fmac_f32_e32 v131, v26, v5
	v_dual_add_f32 v5, v115, v116 :: v_dual_add_f32 v26, v44, v46
	v_mul_f32_e32 v123, v59, v124
	s_delay_alu instid0(VALU_DEP_4)
	v_add_f32_e32 v105, v4, v45
	s_wait_dscnt 0x2
	v_dual_sub_f32 v44, v4, v45 :: v_dual_add_f32 v29, v131, v148
	v_fma_f32 v5, -0.5, v5, v147
	v_add_f32_e32 v122, v42, v4
	v_fma_f32 v4, -0.5, v26, v43
	v_fma_f32 v26, -0.5, v105, v42
	v_mul_f32_e32 v105, v51, v9
	v_fmamk_f32 v43, v47, 0x3f5db3d7, v5
	v_dual_add_f32 v6, v115, v147 :: v_dual_add_f32 v29, v132, v29
	v_dual_add_f32 v28, v131, v132 :: v_dual_fmac_f32 v5, 0xbf5db3d7, v47
	v_sub_f32_e32 v115, v131, v132
	s_delay_alu instid0(VALU_DEP_3) | instskip(SKIP_1) | instid1(VALU_DEP_4)
	v_add_f32_e32 v7, v116, v6
	v_add_f32_e32 v6, v27, v46
	v_fma_f32 v27, -0.5, v28, v148
	v_mul_f32_e32 v46, v49, v3
	v_mul_f32_e32 v3, v48, v3
	;; [unrolled: 1-line block ×3, first 2 shown]
	s_wait_alu 0xfffd
	v_add_co_ci_u32_e32 v53, vcc_lo, v31, v53, vcc_lo
	v_add_co_u32 v54, vcc_lo, v30, v54
	v_fmac_f32_e32 v3, v23, v49
	v_add_f32_e32 v28, v122, v45
	v_dual_mul_f32 v116, v58, v120 :: v_dual_fmac_f32 v9, v25, v51
	v_mul_f32_e32 v122, v60, v124
	s_wait_alu 0xfffd
	v_add_co_ci_u32_e32 v55, vcc_lo, v31, v55, vcc_lo
	v_dual_mul_f32 v120, v57, v120 :: v_dual_fmamk_f32 v45, v44, 0x3f5db3d7, v27
	v_dual_fmac_f32 v27, 0xbf5db3d7, v44 :: v_dual_fmamk_f32 v44, v115, 0xbf5db3d7, v26
	v_dual_fmac_f32 v26, 0x3f5db3d7, v115 :: v_dual_fmac_f32 v123, v12, v60
	v_add_co_u32 v99, vcc_lo, v30, v99
	s_wait_alu 0xfffd
	v_add_co_ci_u32_e32 v100, vcc_lo, v31, v100, vcc_lo
	v_fmamk_f32 v42, v56, 0xbf5db3d7, v4
	global_store_b64 v[32:33], v[28:29], off
	v_fma_f32 v28, v23, v48, -v46
	s_wait_loadcnt 0x5
	v_mul_f32_e32 v23, v62, v2
	v_mul_f32_e32 v32, v61, v2
	v_fma_f32 v2, v10, v57, -v116
	v_fma_f32 v33, v12, v59, -v122
	v_fmac_f32_e32 v4, 0x3f5db3d7, v56
	ds_load_b32 v69, v149
	v_fma_f32 v29, v25, v50, -v105
	v_mul_f32_e32 v25, v64, v8
	s_clause 0x3
	global_store_b64 v[0:1], v[26:27], off
	global_store_b64 v[52:53], v[44:45], off
	;; [unrolled: 1-line block ×4, first 2 shown]
	v_sub_f32_e32 v45, v2, v33
	s_wait_dscnt 0x2
	v_add_f32_e32 v5, v3, v140
	v_dual_sub_f32 v7, v3, v9 :: v_dual_fmac_f32 v120, v10, v58
	v_add_f32_e32 v0, v3, v9
	s_wait_loadcnt 0x3
	v_dual_add_f32 v6, v28, v29 :: v_dual_mul_f32 v51, v73, v71
	v_fma_f32 v12, v22, v61, -v23
	v_fma_f32 v27, v24, v63, -v25
	v_dual_mul_f32 v23, v68, v112 :: v_dual_fmac_f32 v32, v22, v62
	v_add_f32_e32 v48, v40, v2
	v_dual_mul_f32 v22, v66, v72 :: v_dual_add_f32 v3, v9, v5
	v_dual_mul_f32 v8, v63, v8 :: v_dual_add_f32 v25, v120, v146
	v_sub_f32_e32 v4, v28, v29
	v_dual_add_f32 v10, v41, v28 :: v_dual_add_f32 v9, v32, v106
	v_sub_f32_e32 v47, v120, v123
	v_fma_f32 v1, -0.5, v0, v140
	v_mul_f32_e32 v28, v65, v72
	v_fma_f32 v0, -0.5, v6, v41
	v_fma_f32 v49, v21, v67, -v23
	v_add_f32_e32 v26, v123, v25
	v_add_f32_e32 v25, v48, v33
	v_fma_f32 v41, v19, v65, -v22
	v_fmac_f32_e32 v8, v24, v64
	v_fmac_f32_e32 v28, v19, v66
	v_add_f32_e32 v46, v2, v33
	v_dual_add_f32 v2, v10, v29 :: v_dual_add_f32 v29, v12, v27
	s_wait_loadcnt 0x2
	v_dual_add_f32 v6, v32, v8 :: v_dual_mul_f32 v53, v77, v114
	v_dual_sub_f32 v10, v12, v27 :: v_dual_fmac_f32 v51, v18, v74
	v_add_f32_e32 v12, v39, v12
	v_dual_mul_f32 v44, v67, v112 :: v_dual_mul_f32 v19, v74, v71
	v_add_f32_e32 v24, v120, v123
	v_fmamk_f32 v5, v4, 0x3f5db3d7, v1
	v_dual_fmac_f32 v1, 0xbf5db3d7, v4 :: v_dual_fmamk_f32 v4, v7, 0xbf5db3d7, v0
	v_fmac_f32_e32 v0, 0x3f5db3d7, v7
	v_fma_f32 v7, -0.5, v6, v106
	v_fmac_f32_e32 v44, v21, v68
	v_fma_f32 v6, -0.5, v29, v39
	v_add_f32_e32 v39, v41, v49
	v_dual_add_f32 v22, v8, v9 :: v_dual_fmac_f32 v53, v15, v78
	v_fmamk_f32 v9, v10, 0x3f5db3d7, v7
	v_add_f32_e32 v29, v28, v119
	v_dual_fmac_f32 v7, 0xbf5db3d7, v10 :: v_dual_mul_f32 v52, v75, v111
	v_add_f32_e32 v21, v12, v27
	v_add_f32_e32 v27, v28, v44
	s_delay_alu instid0(VALU_DEP_4)
	v_add_f32_e32 v33, v44, v29
	v_fma_f32 v23, -0.5, v46, v40
	v_fmac_f32_e32 v52, v20, v76
	v_mul_f32_e32 v50, v76, v111
	v_sub_f32_e32 v40, v28, v44
	v_fma_f32 v46, v18, v73, -v19
	v_fma_f32 v28, -0.5, v27, v119
	v_mul_f32_e32 v54, v79, v118
	v_add_f32_e32 v29, v51, v52
	v_fma_f32 v48, v20, v75, -v50
	v_mul_f32_e32 v50, v80, v118
	v_fma_f32 v24, -0.5, v24, v146
	v_sub_f32_e32 v32, v32, v8
	s_wait_loadcnt 0x1
	v_dual_mul_f32 v20, v78, v114 :: v_dual_mul_f32 v55, v109, v117
	v_fma_f32 v27, -0.5, v39, v38
	v_sub_f32_e32 v10, v46, v48
	v_fma_f32 v50, v17, v79, -v50
	v_fmac_f32_e32 v54, v17, v80
	v_fmamk_f32 v18, v47, 0xbf5db3d7, v23
	v_fmac_f32_e32 v23, 0x3f5db3d7, v47
	v_add_f32_e32 v47, v46, v48
	v_mul_f32_e32 v17, v110, v117
	v_sub_f32_e32 v12, v41, v49
	v_add_f32_e32 v41, v38, v41
	v_fmamk_f32 v19, v45, 0x3f5db3d7, v24
	v_fmamk_f32 v8, v32, 0xbf5db3d7, v6
	v_fmac_f32_e32 v6, 0x3f5db3d7, v32
	s_wait_loadcnt 0x0
	v_dual_add_f32 v46, v37, v46 :: v_dual_mul_f32 v57, v127, v121
	v_dual_add_f32 v32, v41, v49 :: v_dual_fmac_f32 v55, v16, v110
	v_sub_f32_e32 v49, v51, v52
	v_fma_f32 v20, v15, v77, -v20
	v_mul_f32_e32 v15, v108, v113
	v_fmamk_f32 v38, v40, 0xbf5db3d7, v27
	v_fmac_f32_e32 v27, 0x3f5db3d7, v40
	s_wait_dscnt 0x1
	v_fma_f32 v41, -0.5, v29, v150
	v_fma_f32 v40, -0.5, v47, v37
	v_add_f32_e32 v29, v53, v54
	v_add_f32_e32 v37, v53, v126
	v_sub_f32_e32 v47, v53, v54
	v_dual_mul_f32 v53, v128, v121 :: v_dual_add_f32 v44, v51, v150
	v_mul_f32_e32 v51, v107, v113
	v_fmac_f32_e32 v24, 0xbf5db3d7, v45
	v_fmamk_f32 v39, v12, 0x3f5db3d7, v28
	v_fmac_f32_e32 v57, v11, v128
	v_add_f32_e32 v45, v52, v44
	v_fma_f32 v52, v16, v109, -v17
	v_fmac_f32_e32 v51, v14, v108
	v_fma_f32 v17, -0.5, v29, v126
	v_add_f32_e32 v44, v46, v48
	v_fma_f32 v48, v14, v107, -v15
	v_fmamk_f32 v15, v10, 0x3f5db3d7, v41
	v_dual_fmac_f32 v41, 0xbf5db3d7, v10 :: v_dual_fmac_f32 v28, 0xbf5db3d7, v12
	v_dual_add_f32 v37, v54, v37 :: v_dual_sub_f32 v12, v20, v50
	v_add_f32_e32 v46, v20, v50
	v_mul_f32_e32 v56, v130, v125
	v_mad_co_u64_u32 v[60:61], null, s8, v96, 0
	v_add_f32_e32 v29, v51, v55
	s_delay_alu instid0(VALU_DEP_4)
	v_fma_f32 v16, -0.5, v46, v36
	v_add_f32_e32 v46, v51, v145
	v_add_f32_e32 v20, v36, v20
	v_lshlrev_b64_e32 v[101:102], 3, v[135:136]
	v_lshlrev_b64_e32 v[103:104], 3, v[137:138]
	v_fmamk_f32 v10, v47, 0xbf5db3d7, v16
	v_dual_fmac_f32 v16, 0x3f5db3d7, v47 :: v_dual_add_f32 v47, v55, v46
	v_add_f32_e32 v36, v20, v50
	v_sub_f32_e32 v20, v48, v52
	v_mul_f32_e32 v58, v129, v125
	v_sub_f32_e32 v50, v51, v55
	v_fma_f32 v51, v11, v127, -v53
	v_fmamk_f32 v14, v49, 0xbf5db3d7, v40
	s_delay_alu instid0(VALU_DEP_4) | instskip(SKIP_3) | instid1(VALU_DEP_4)
	v_dual_fmamk_f32 v11, v12, 0x3f5db3d7, v17 :: v_dual_fmac_f32 v58, v13, v130
	v_dual_fmac_f32 v40, 0x3f5db3d7, v49 :: v_dual_add_f32 v49, v48, v52
	v_fma_f32 v53, v13, v129, -v56
	v_fma_f32 v13, -0.5, v29, v145
	v_dual_sub_f32 v55, v57, v58 :: v_dual_add_f32 v56, v34, v51
	v_fmac_f32_e32 v17, 0xbf5db3d7, v12
	s_delay_alu instid0(VALU_DEP_4)
	v_sub_f32_e32 v29, v51, v53
	v_add_f32_e32 v48, v35, v48
	v_add_f32_e32 v54, v51, v53
	v_fma_f32 v12, -0.5, v49, v35
	v_add_f32_e32 v35, v57, v58
	v_add_co_u32 v101, vcc_lo, v30, v101
	v_add_f32_e32 v46, v48, v52
	s_wait_dscnt 0x0
	v_add_f32_e32 v52, v57, v69
	v_fma_f32 v34, -0.5, v54, v34
	v_fmamk_f32 v48, v50, 0xbf5db3d7, v12
	v_fmac_f32_e32 v12, 0x3f5db3d7, v50
	s_delay_alu instid0(VALU_DEP_4) | instskip(NEXT) | instid1(VALU_DEP_4)
	v_dual_add_f32 v50, v56, v53 :: v_dual_add_f32 v51, v58, v52
	v_fmamk_f32 v52, v55, 0xbf5db3d7, v34
	v_fmac_f32_e32 v34, 0x3f5db3d7, v55
	v_mad_co_u64_u32 v[54:55], null, s9, v97, v[70:71]
	v_mad_co_u64_u32 v[55:56], null, s9, v98, v[81:82]
	;; [unrolled: 1-line block ×3, first 2 shown]
	s_wait_alu 0xfffd
	v_add_co_ci_u32_e32 v102, vcc_lo, v31, v102, vcc_lo
	v_add_co_u32 v58, vcc_lo, v30, v103
	v_fmamk_f32 v49, v20, 0x3f5db3d7, v13
	v_fmac_f32_e32 v13, 0xbf5db3d7, v20
	s_wait_alu 0xfffd
	v_add_co_ci_u32_e32 v59, vcc_lo, v31, v104, vcc_lo
	v_mov_b32_e32 v20, v57
	v_mov_b32_e32 v140, v54
	;; [unrolled: 1-line block ×3, first 2 shown]
	s_clause 0x1
	global_store_b64 v[101:102], v[42:43], off
	global_store_b64 v[58:59], v[25:26], off
	v_mad_co_u64_u32 v[54:55], null, s9, v94, v[20:21]
	v_mad_co_u64_u32 v[58:59], null, s8, v95, 0
	v_fma_f32 v35, -0.5, v35, v69
	v_lshlrev_b64_e32 v[25:26], 3, v[139:140]
	v_lshlrev_b64_e32 v[42:43], 3, v[141:142]
	v_mov_b32_e32 v57, v54
	s_delay_alu instid0(VALU_DEP_4) | instskip(SKIP_2) | instid1(VALU_DEP_4)
	v_dual_fmamk_f32 v53, v29, 0x3f5db3d7, v35 :: v_dual_mov_b32 v20, v59
	v_fmac_f32_e32 v35, 0xbf5db3d7, v29
	v_mov_b32_e32 v29, v61
	v_lshlrev_b64_e32 v[54:55], 3, v[56:57]
	v_add_co_u32 v25, vcc_lo, v30, v25
	v_mad_co_u64_u32 v[56:57], null, s9, v95, v[20:21]
	s_delay_alu instid0(VALU_DEP_4)
	v_mad_co_u64_u32 v[61:62], null, s9, v96, v[29:30]
	s_wait_alu 0xfffd
	v_add_co_ci_u32_e32 v26, vcc_lo, v31, v26, vcc_lo
	v_mad_co_u64_u32 v[62:63], null, s8, v91, 0
	v_add_co_u32 v42, vcc_lo, v30, v42
	v_mov_b32_e32 v59, v56
	s_wait_alu 0xfffd
	v_add_co_ci_u32_e32 v43, vcc_lo, v31, v43, vcc_lo
	s_clause 0x1
	global_store_b64 v[25:26], v[23:24], off
	global_store_b64 v[42:43], v[18:19], off
	v_lshlrev_b64_e32 v[19:20], 3, v[58:59]
	v_mov_b32_e32 v18, v63
	v_mul_hi_u32 v26, 0x91a2b3c5, v90
	v_add_co_u32 v54, vcc_lo, v30, v54
	s_wait_alu 0xfffd
	v_add_co_ci_u32_e32 v55, vcc_lo, v31, v55, vcc_lo
	v_mad_co_u64_u32 v[23:24], null, s9, v91, v[18:19]
	v_mad_co_u64_u32 v[24:25], null, s8, v93, 0
	v_add_co_u32 v18, vcc_lo, v30, v19
	s_wait_alu 0xfffd
	v_add_co_ci_u32_e32 v19, vcc_lo, v31, v20, vcc_lo
	s_delay_alu instid0(VALU_DEP_4)
	v_mov_b32_e32 v63, v23
	v_lshrrev_b32_e32 v23, 9, v26
	v_mov_b32_e32 v20, v25
	v_lshlrev_b64_e32 v[42:43], 3, v[60:61]
	global_store_b64 v[54:55], v[50:51], off
	v_mad_co_u64_u32 v[50:51], null, s8, v92, 0
	v_mad_co_u64_u32 v[54:55], null, s9, v93, v[20:21]
	v_mad_u32_u24 v29, 0x708, v23, v90
	v_lshlrev_b64_e32 v[25:26], 3, v[62:63]
	v_add_co_u32 v42, vcc_lo, v30, v42
	s_wait_alu 0xfffd
	v_add_co_ci_u32_e32 v43, vcc_lo, v31, v43, vcc_lo
	v_mad_co_u64_u32 v[55:56], null, s8, v29, 0
	v_mov_b32_e32 v20, v51
	v_add_co_u32 v57, vcc_lo, v30, v25
	v_mov_b32_e32 v25, v54
	s_wait_alu 0xfffd
	v_add_co_ci_u32_e32 v58, vcc_lo, v31, v26, vcc_lo
	v_mad_co_u64_u32 v[59:60], null, s9, v92, v[20:21]
	s_clause 0x2
	global_store_b64 v[18:19], v[34:35], off
	global_store_b64 v[42:43], v[52:53], off
	;; [unrolled: 1-line block ×3, first 2 shown]
	v_lshlrev_b64_e32 v[19:20], 3, v[24:25]
	v_mov_b32_e32 v18, v56
	v_add_nc_u32_e32 v52, 0x384, v29
	v_mad_co_u64_u32 v[46:47], null, s8, v87, 0
	v_mov_b32_e32 v51, v59
	s_delay_alu instid0(VALU_DEP_4) | instskip(NEXT) | instid1(VALU_DEP_4)
	v_mad_co_u64_u32 v[23:24], null, s9, v29, v[18:19]
	v_mad_co_u64_u32 v[24:25], null, s8, v52, 0
	v_add_nc_u32_e32 v29, 0x708, v29
	v_add_co_u32 v18, vcc_lo, v30, v19
	s_wait_alu 0xfffd
	v_add_co_ci_u32_e32 v19, vcc_lo, v31, v20, vcc_lo
	s_delay_alu instid0(VALU_DEP_3) | instskip(SKIP_3) | instid1(VALU_DEP_3)
	v_mad_co_u64_u32 v[42:43], null, s8, v29, 0
	v_mov_b32_e32 v20, v25
	v_lshlrev_b64_e32 v[34:35], 3, v[50:51]
	v_mov_b32_e32 v56, v23
	v_mad_co_u64_u32 v[50:51], null, s9, v52, v[20:21]
	v_dual_mov_b32 v20, v47 :: v_dual_mov_b32 v23, v43
	s_delay_alu instid0(VALU_DEP_3) | instskip(SKIP_1) | instid1(VALU_DEP_3)
	v_lshlrev_b64_e32 v[25:26], 3, v[55:56]
	v_add_co_u32 v34, vcc_lo, v30, v34
	v_mad_co_u64_u32 v[54:55], null, s9, v87, v[20:21]
	v_mad_co_u64_u32 v[55:56], null, s8, v89, 0
	;; [unrolled: 1-line block ×3, first 2 shown]
	s_wait_alu 0xfffd
	v_add_co_ci_u32_e32 v35, vcc_lo, v31, v35, vcc_lo
	v_add_co_u32 v52, vcc_lo, v30, v25
	s_delay_alu instid0(VALU_DEP_4) | instskip(NEXT) | instid1(VALU_DEP_4)
	v_dual_mov_b32 v25, v50 :: v_dual_mov_b32 v20, v56
	v_mov_b32_e32 v43, v51
	s_clause 0x1
	global_store_b64 v[18:19], v[12:13], off
	global_store_b64 v[34:35], v[48:49], off
	s_wait_alu 0xfffd
	v_add_co_ci_u32_e32 v53, vcc_lo, v31, v26, vcc_lo
	v_lshlrev_b64_e32 v[12:13], 3, v[24:25]
	v_mad_co_u64_u32 v[25:26], null, s9, v89, v[20:21]
	v_mad_co_u64_u32 v[34:35], null, s8, v88, 0
	v_mov_b32_e32 v47, v54
	s_delay_alu instid0(VALU_DEP_4)
	v_add_co_u32 v12, vcc_lo, v30, v12
	s_wait_alu 0xfffd
	v_add_co_ci_u32_e32 v13, vcc_lo, v31, v13, vcc_lo
	v_lshlrev_b64_e32 v[18:19], 3, v[42:43]
	v_mov_b32_e32 v56, v25
	v_mad_co_u64_u32 v[25:26], null, s8, v84, 0
	v_lshlrev_b64_e32 v[23:24], 3, v[46:47]
	s_clause 0x1
	global_store_b64 v[52:53], v[36:37], off
	global_store_b64 v[12:13], v[16:17], off
	v_mov_b32_e32 v12, v35
	v_add_co_u32 v18, vcc_lo, v30, v18
	s_wait_alu 0xfffd
	v_add_co_ci_u32_e32 v19, vcc_lo, v31, v19, vcc_lo
	v_add_co_u32 v23, vcc_lo, v30, v23
	v_mad_co_u64_u32 v[12:13], null, s9, v88, v[12:13]
	v_mov_b32_e32 v13, v26
	s_wait_alu 0xfffd
	v_add_co_ci_u32_e32 v24, vcc_lo, v31, v24, vcc_lo
	s_clause 0x1
	global_store_b64 v[18:19], v[10:11], off
	global_store_b64 v[23:24], v[44:45], off
	v_lshlrev_b64_e32 v[10:11], 3, v[55:56]
	v_mad_co_u64_u32 v[16:17], null, s8, v86, 0
	v_mad_co_u64_u32 v[18:19], null, s9, v84, v[13:14]
	v_mul_hi_u32 v19, 0x91a2b3c5, v83
	v_mov_b32_e32 v35, v12
	v_mad_co_u64_u32 v[12:13], null, s8, v85, 0
	v_add_co_u32 v10, vcc_lo, v30, v10
	s_wait_alu 0xfffd
	v_add_co_ci_u32_e32 v11, vcc_lo, v31, v11, vcc_lo
	v_mov_b32_e32 v26, v18
	v_mad_co_u64_u32 v[17:18], null, s9, v86, v[17:18]
	v_lshrrev_b32_e32 v18, 9, v19
	global_store_b64 v[10:11], v[40:41], off
	v_lshlrev_b64_e32 v[10:11], 3, v[34:35]
	v_mad_co_u64_u32 v[23:24], null, s9, v85, v[13:14]
	v_mad_u32_u24 v20, 0x708, v18, v83
	v_lshlrev_b64_e32 v[18:19], 3, v[25:26]
	s_delay_alu instid0(VALU_DEP_4) | instskip(NEXT) | instid1(VALU_DEP_3)
	v_add_co_u32 v10, vcc_lo, v30, v10
	v_mad_co_u64_u32 v[24:25], null, s8, v20, 0
	s_wait_alu 0xfffd
	v_add_co_ci_u32_e32 v11, vcc_lo, v31, v11, vcc_lo
	v_mov_b32_e32 v13, v23
	v_add_co_u32 v18, vcc_lo, v30, v18
	global_store_b64 v[10:11], v[14:15], off
	v_mov_b32_e32 v10, v25
	v_lshlrev_b64_e32 v[11:12], 3, v[12:13]
	v_lshlrev_b64_e32 v[14:15], 3, v[16:17]
	s_wait_alu 0xfffd
	v_add_co_ci_u32_e32 v19, vcc_lo, v31, v19, vcc_lo
	v_add_nc_u32_e32 v23, 0x708, v20
	s_delay_alu instid0(VALU_DEP_4)
	v_mad_co_u64_u32 v[16:17], null, s9, v20, v[10:11]
	v_mul_hi_u32 v17, 0x91a2b3c5, v82
	v_add_co_u32 v13, vcc_lo, v30, v14
	global_store_b64 v[18:19], v[32:33], off
	s_wait_alu 0xfffd
	v_add_co_ci_u32_e32 v14, vcc_lo, v31, v15, vcc_lo
	v_add_nc_u32_e32 v19, 0x384, v20
	v_add_co_u32 v10, vcc_lo, v30, v11
	s_wait_alu 0xfffd
	v_add_co_ci_u32_e32 v11, vcc_lo, v31, v12, vcc_lo
	v_mov_b32_e32 v25, v16
	v_lshrrev_b32_e32 v12, 9, v17
	v_mad_co_u64_u32 v[15:16], null, s8, v19, 0
	s_clause 0x1
	global_store_b64 v[13:14], v[27:28], off
	global_store_b64 v[10:11], v[38:39], off
	v_lshlrev_b64_e32 v[10:11], 3, v[24:25]
	v_mad_u32_u24 v25, 0x708, v12, v82
	v_mad_co_u64_u32 v[12:13], null, s8, v23, 0
	s_delay_alu instid0(VALU_DEP_2) | instskip(SKIP_1) | instid1(VALU_DEP_2)
	v_dual_mov_b32 v14, v16 :: v_dual_add_nc_u32 v27, 0x384, v25
	v_mad_co_u64_u32 v[17:18], null, s8, v25, 0
	v_mad_co_u64_u32 v[19:20], null, s9, v19, v[14:15]
	s_delay_alu instid0(VALU_DEP_4) | instskip(NEXT) | instid1(VALU_DEP_4)
	v_mad_co_u64_u32 v[13:14], null, s9, v23, v[13:14]
	v_mad_co_u64_u32 v[23:24], null, s8, v27, 0
	v_add_co_u32 v10, vcc_lo, v30, v10
	s_wait_alu 0xfffd
	v_add_co_ci_u32_e32 v11, vcc_lo, v31, v11, vcc_lo
	v_add_nc_u32_e32 v28, 0x708, v25
	v_mov_b32_e32 v14, v18
	v_mov_b32_e32 v16, v19
	global_store_b64 v[10:11], v[21:22], off
	v_mov_b32_e32 v10, v24
	v_mad_co_u64_u32 v[19:20], null, s8, v28, 0
	v_mad_co_u64_u32 v[25:26], null, s9, v25, v[14:15]
	s_delay_alu instid0(VALU_DEP_3) | instskip(SKIP_2) | instid1(VALU_DEP_4)
	v_mad_co_u64_u32 v[10:11], null, s9, v27, v[10:11]
	v_lshlrev_b64_e32 v[14:15], 3, v[15:16]
	v_lshlrev_b64_e32 v[12:13], 3, v[12:13]
	v_dual_mov_b32 v11, v20 :: v_dual_mov_b32 v18, v25
	s_delay_alu instid0(VALU_DEP_3) | instskip(NEXT) | instid1(VALU_DEP_2)
	v_add_co_u32 v14, vcc_lo, v30, v14
	v_mad_co_u64_u32 v[20:21], null, s9, v28, v[11:12]
	v_mov_b32_e32 v24, v10
	s_wait_alu 0xfffd
	v_add_co_ci_u32_e32 v15, vcc_lo, v31, v15, vcc_lo
	v_lshlrev_b64_e32 v[16:17], 3, v[17:18]
	v_add_co_u32 v10, vcc_lo, v30, v12
	s_wait_alu 0xfffd
	v_add_co_ci_u32_e32 v11, vcc_lo, v31, v13, vcc_lo
	v_lshlrev_b64_e32 v[12:13], 3, v[23:24]
	s_delay_alu instid0(VALU_DEP_4) | instskip(SKIP_3) | instid1(VALU_DEP_4)
	v_add_co_u32 v16, vcc_lo, v30, v16
	v_lshlrev_b64_e32 v[18:19], 3, v[19:20]
	s_wait_alu 0xfffd
	v_add_co_ci_u32_e32 v17, vcc_lo, v31, v17, vcc_lo
	v_add_co_u32 v12, vcc_lo, v30, v12
	s_wait_alu 0xfffd
	v_add_co_ci_u32_e32 v13, vcc_lo, v31, v13, vcc_lo
	v_add_co_u32 v18, vcc_lo, v30, v18
	s_wait_alu 0xfffd
	v_add_co_ci_u32_e32 v19, vcc_lo, v31, v19, vcc_lo
	s_clause 0x4
	global_store_b64 v[14:15], v[6:7], off
	global_store_b64 v[10:11], v[8:9], off
	;; [unrolled: 1-line block ×5, first 2 shown]
.LBB0_15:
	s_nop 0
	s_sendmsg sendmsg(MSG_DEALLOC_VGPRS)
	s_endpgm
	.section	.rodata,"a",@progbits
	.p2align	6, 0x0
	.amdhsa_kernel fft_rtc_fwd_len2700_factors_3_10_10_3_3_wgs_90_tpt_90_halfLds_sp_ip_CI_sbrr_dirReg
		.amdhsa_group_segment_fixed_size 0
		.amdhsa_private_segment_fixed_size 0
		.amdhsa_kernarg_size 88
		.amdhsa_user_sgpr_count 2
		.amdhsa_user_sgpr_dispatch_ptr 0
		.amdhsa_user_sgpr_queue_ptr 0
		.amdhsa_user_sgpr_kernarg_segment_ptr 1
		.amdhsa_user_sgpr_dispatch_id 0
		.amdhsa_user_sgpr_private_segment_size 0
		.amdhsa_wavefront_size32 1
		.amdhsa_uses_dynamic_stack 0
		.amdhsa_enable_private_segment 0
		.amdhsa_system_sgpr_workgroup_id_x 1
		.amdhsa_system_sgpr_workgroup_id_y 0
		.amdhsa_system_sgpr_workgroup_id_z 0
		.amdhsa_system_sgpr_workgroup_info 0
		.amdhsa_system_vgpr_workitem_id 0
		.amdhsa_next_free_vgpr 194
		.amdhsa_next_free_sgpr 35
		.amdhsa_reserve_vcc 1
		.amdhsa_float_round_mode_32 0
		.amdhsa_float_round_mode_16_64 0
		.amdhsa_float_denorm_mode_32 3
		.amdhsa_float_denorm_mode_16_64 3
		.amdhsa_fp16_overflow 0
		.amdhsa_workgroup_processor_mode 1
		.amdhsa_memory_ordered 1
		.amdhsa_forward_progress 0
		.amdhsa_round_robin_scheduling 0
		.amdhsa_exception_fp_ieee_invalid_op 0
		.amdhsa_exception_fp_denorm_src 0
		.amdhsa_exception_fp_ieee_div_zero 0
		.amdhsa_exception_fp_ieee_overflow 0
		.amdhsa_exception_fp_ieee_underflow 0
		.amdhsa_exception_fp_ieee_inexact 0
		.amdhsa_exception_int_div_zero 0
	.end_amdhsa_kernel
	.text
.Lfunc_end0:
	.size	fft_rtc_fwd_len2700_factors_3_10_10_3_3_wgs_90_tpt_90_halfLds_sp_ip_CI_sbrr_dirReg, .Lfunc_end0-fft_rtc_fwd_len2700_factors_3_10_10_3_3_wgs_90_tpt_90_halfLds_sp_ip_CI_sbrr_dirReg
                                        ; -- End function
	.section	.AMDGPU.csdata,"",@progbits
; Kernel info:
; codeLenInByte = 20844
; NumSgprs: 37
; NumVgprs: 194
; ScratchSize: 0
; MemoryBound: 0
; FloatMode: 240
; IeeeMode: 1
; LDSByteSize: 0 bytes/workgroup (compile time only)
; SGPRBlocks: 4
; VGPRBlocks: 24
; NumSGPRsForWavesPerEU: 37
; NumVGPRsForWavesPerEU: 194
; Occupancy: 7
; WaveLimiterHint : 1
; COMPUTE_PGM_RSRC2:SCRATCH_EN: 0
; COMPUTE_PGM_RSRC2:USER_SGPR: 2
; COMPUTE_PGM_RSRC2:TRAP_HANDLER: 0
; COMPUTE_PGM_RSRC2:TGID_X_EN: 1
; COMPUTE_PGM_RSRC2:TGID_Y_EN: 0
; COMPUTE_PGM_RSRC2:TGID_Z_EN: 0
; COMPUTE_PGM_RSRC2:TIDIG_COMP_CNT: 0
	.text
	.p2alignl 7, 3214868480
	.fill 96, 4, 3214868480
	.type	__hip_cuid_eb01de8ccbe5d968,@object ; @__hip_cuid_eb01de8ccbe5d968
	.section	.bss,"aw",@nobits
	.globl	__hip_cuid_eb01de8ccbe5d968
__hip_cuid_eb01de8ccbe5d968:
	.byte	0                               ; 0x0
	.size	__hip_cuid_eb01de8ccbe5d968, 1

	.ident	"AMD clang version 19.0.0git (https://github.com/RadeonOpenCompute/llvm-project roc-6.4.0 25133 c7fe45cf4b819c5991fe208aaa96edf142730f1d)"
	.section	".note.GNU-stack","",@progbits
	.addrsig
	.addrsig_sym __hip_cuid_eb01de8ccbe5d968
	.amdgpu_metadata
---
amdhsa.kernels:
  - .args:
      - .actual_access:  read_only
        .address_space:  global
        .offset:         0
        .size:           8
        .value_kind:     global_buffer
      - .offset:         8
        .size:           8
        .value_kind:     by_value
      - .actual_access:  read_only
        .address_space:  global
        .offset:         16
        .size:           8
        .value_kind:     global_buffer
      - .actual_access:  read_only
        .address_space:  global
        .offset:         24
        .size:           8
        .value_kind:     global_buffer
      - .offset:         32
        .size:           8
        .value_kind:     by_value
      - .actual_access:  read_only
        .address_space:  global
        .offset:         40
        .size:           8
        .value_kind:     global_buffer
      - .actual_access:  read_only
        .address_space:  global
        .offset:         48
        .size:           8
        .value_kind:     global_buffer
      - .offset:         56
        .size:           4
        .value_kind:     by_value
      - .actual_access:  read_only
        .address_space:  global
        .offset:         64
        .size:           8
        .value_kind:     global_buffer
      - .actual_access:  read_only
        .address_space:  global
        .offset:         72
        .size:           8
        .value_kind:     global_buffer
      - .address_space:  global
        .offset:         80
        .size:           8
        .value_kind:     global_buffer
    .group_segment_fixed_size: 0
    .kernarg_segment_align: 8
    .kernarg_segment_size: 88
    .language:       OpenCL C
    .language_version:
      - 2
      - 0
    .max_flat_workgroup_size: 90
    .name:           fft_rtc_fwd_len2700_factors_3_10_10_3_3_wgs_90_tpt_90_halfLds_sp_ip_CI_sbrr_dirReg
    .private_segment_fixed_size: 0
    .sgpr_count:     37
    .sgpr_spill_count: 0
    .symbol:         fft_rtc_fwd_len2700_factors_3_10_10_3_3_wgs_90_tpt_90_halfLds_sp_ip_CI_sbrr_dirReg.kd
    .uniform_work_group_size: 1
    .uses_dynamic_stack: false
    .vgpr_count:     194
    .vgpr_spill_count: 0
    .wavefront_size: 32
    .workgroup_processor_mode: 1
amdhsa.target:   amdgcn-amd-amdhsa--gfx1201
amdhsa.version:
  - 1
  - 2
...

	.end_amdgpu_metadata
